;; amdgpu-corpus repo=zjin-lcf/HeCBench kind=compiled arch=gfx1100 opt=O3
	.text
	.amdgcn_target "amdgcn-amd-amdhsa--gfx1100"
	.amdhsa_code_object_version 6
	.protected	_Z18reduce_card_devicePii ; -- Begin function _Z18reduce_card_devicePii
	.globl	_Z18reduce_card_devicePii
	.p2align	8
	.type	_Z18reduce_card_devicePii,@function
_Z18reduce_card_devicePii:              ; @_Z18reduce_card_devicePii
; %bb.0:
	s_clause 0x1
	s_load_b32 s2, s[0:1], 0x8
	s_load_b64 s[0:1], s[0:1], 0x0
	s_waitcnt lgkmcnt(0)
	s_cmp_lt_i32 s2, 1
	s_cbranch_scc1 .LBB0_5
; %bb.1:
	s_lshl_b32 s6, s2, 1
	s_add_u32 s2, s0, 4
	s_addc_u32 s3, s1, 0
	s_mov_b32 s7, 0
	s_mov_b32 s5, -1
                                        ; implicit-def: $sgpr4
	s_branch .LBB0_3
.LBB0_2:                                ;   in Loop: Header=BB0_3 Depth=1
	s_add_i32 s7, s7, 2
	s_add_u32 s2, s2, 8
	s_addc_u32 s3, s3, 0
	s_cmp_lt_i32 s7, s6
	s_cbranch_scc0 .LBB0_6
.LBB0_3:                                ; =>This Inner Loop Header: Depth=1
	s_add_u32 s8, s2, -4
	s_addc_u32 s9, s3, -1
	s_load_b32 s8, s[8:9], 0x0
	s_waitcnt lgkmcnt(0)
	s_cmp_le_i32 s8, s5
	s_cbranch_scc1 .LBB0_2
; %bb.4:                                ;   in Loop: Header=BB0_3 Depth=1
	s_load_b32 s4, s[2:3], 0x0
	s_mov_b32 s5, s8
	s_branch .LBB0_2
.LBB0_5:
	s_mov_b32 s5, -1
                                        ; implicit-def: $sgpr4
.LBB0_6:
	s_waitcnt lgkmcnt(0)
	v_dual_mov_b32 v0, s5 :: v_dual_mov_b32 v1, s4
	v_mov_b32_e32 v2, 0
	global_store_b64 v2, v[0:1], s[0:1]
	s_nop 0
	s_sendmsg sendmsg(MSG_DEALLOC_VGPRS)
	s_endpgm
	.section	.rodata,"a",@progbits
	.p2align	6, 0x0
	.amdhsa_kernel _Z18reduce_card_devicePii
		.amdhsa_group_segment_fixed_size 0
		.amdhsa_private_segment_fixed_size 0
		.amdhsa_kernarg_size 12
		.amdhsa_user_sgpr_count 15
		.amdhsa_user_sgpr_dispatch_ptr 0
		.amdhsa_user_sgpr_queue_ptr 0
		.amdhsa_user_sgpr_kernarg_segment_ptr 1
		.amdhsa_user_sgpr_dispatch_id 0
		.amdhsa_user_sgpr_private_segment_size 0
		.amdhsa_wavefront_size32 1
		.amdhsa_uses_dynamic_stack 0
		.amdhsa_enable_private_segment 0
		.amdhsa_system_sgpr_workgroup_id_x 1
		.amdhsa_system_sgpr_workgroup_id_y 0
		.amdhsa_system_sgpr_workgroup_id_z 0
		.amdhsa_system_sgpr_workgroup_info 0
		.amdhsa_system_vgpr_workitem_id 0
		.amdhsa_next_free_vgpr 3
		.amdhsa_next_free_sgpr 10
		.amdhsa_reserve_vcc 0
		.amdhsa_float_round_mode_32 0
		.amdhsa_float_round_mode_16_64 0
		.amdhsa_float_denorm_mode_32 3
		.amdhsa_float_denorm_mode_16_64 3
		.amdhsa_dx10_clamp 1
		.amdhsa_ieee_mode 1
		.amdhsa_fp16_overflow 0
		.amdhsa_workgroup_processor_mode 1
		.amdhsa_memory_ordered 1
		.amdhsa_forward_progress 0
		.amdhsa_shared_vgpr_count 0
		.amdhsa_exception_fp_ieee_invalid_op 0
		.amdhsa_exception_fp_denorm_src 0
		.amdhsa_exception_fp_ieee_div_zero 0
		.amdhsa_exception_fp_ieee_overflow 0
		.amdhsa_exception_fp_ieee_underflow 0
		.amdhsa_exception_fp_ieee_inexact 0
		.amdhsa_exception_int_div_zero 0
	.end_amdhsa_kernel
	.text
.Lfunc_end0:
	.size	_Z18reduce_card_devicePii, .Lfunc_end0-_Z18reduce_card_devicePii
                                        ; -- End function
	.section	.AMDGPU.csdata,"",@progbits
; Kernel info:
; codeLenInByte = 160
; NumSgprs: 10
; NumVgprs: 3
; ScratchSize: 0
; MemoryBound: 0
; FloatMode: 240
; IeeeMode: 1
; LDSByteSize: 0 bytes/workgroup (compile time only)
; SGPRBlocks: 1
; VGPRBlocks: 0
; NumSGPRsForWavesPerEU: 10
; NumVGPRsForWavesPerEU: 3
; Occupancy: 16
; WaveLimiterHint : 0
; COMPUTE_PGM_RSRC2:SCRATCH_EN: 0
; COMPUTE_PGM_RSRC2:USER_SGPR: 15
; COMPUTE_PGM_RSRC2:TRAP_HANDLER: 0
; COMPUTE_PGM_RSRC2:TGID_X_EN: 1
; COMPUTE_PGM_RSRC2:TGID_Y_EN: 0
; COMPUTE_PGM_RSRC2:TGID_Z_EN: 0
; COMPUTE_PGM_RSRC2:TIDIG_COMP_CNT: 0
	.text
	.protected	_Z15compute_degreesPiS_ii ; -- Begin function _Z15compute_degreesPiS_ii
	.globl	_Z15compute_degreesPiS_ii
	.p2align	8
	.type	_Z15compute_degreesPiS_ii,@function
_Z15compute_degreesPiS_ii:              ; @_Z15compute_degreesPiS_ii
; %bb.0:
	s_clause 0x1
	s_load_b32 s6, s[0:1], 0x18
	s_load_b64 s[2:3], s[0:1], 0x10
	s_add_u32 s4, s0, 24
	s_addc_u32 s5, s1, 0
	s_waitcnt lgkmcnt(0)
	s_abs_i32 s7, s6
	s_add_i32 s10, s2, s6
	v_cvt_f32_u32_e32 v1, s7
	s_sub_i32 s9, 0, s7
	s_add_i32 s10, s10, -1
	s_delay_alu instid0(SALU_CYCLE_1) | instskip(NEXT) | instid1(VALU_DEP_1)
	s_abs_i32 s11, s10
	v_rcp_iflag_f32_e32 v1, v1
	s_xor_b32 s6, s10, s6
	s_delay_alu instid0(SALU_CYCLE_1) | instskip(SKIP_2) | instid1(VALU_DEP_1)
	s_ashr_i32 s6, s6, 31
	s_waitcnt_depctr 0xfff
	v_mul_f32_e32 v1, 0x4f7ffffe, v1
	v_cvt_u32_f32_e32 v1, v1
	s_delay_alu instid0(VALU_DEP_1) | instskip(NEXT) | instid1(VALU_DEP_1)
	v_readfirstlane_b32 s8, v1
	s_mul_i32 s9, s9, s8
	s_delay_alu instid0(SALU_CYCLE_1) | instskip(NEXT) | instid1(SALU_CYCLE_1)
	s_mul_hi_u32 s9, s8, s9
	s_add_i32 s8, s8, s9
	s_delay_alu instid0(SALU_CYCLE_1) | instskip(NEXT) | instid1(SALU_CYCLE_1)
	s_mul_hi_u32 s8, s11, s8
	s_mul_i32 s9, s8, s7
	s_add_i32 s10, s8, 1
	s_sub_i32 s9, s11, s9
	s_delay_alu instid0(SALU_CYCLE_1)
	s_sub_i32 s11, s9, s7
	s_cmp_ge_u32 s9, s7
	s_cselect_b32 s8, s10, s8
	s_cselect_b32 s9, s11, s9
	s_add_i32 s10, s8, 1
	s_cmp_ge_u32 s9, s7
	s_cselect_b32 s7, s10, s8
	s_delay_alu instid0(SALU_CYCLE_1) | instskip(NEXT) | instid1(SALU_CYCLE_1)
	s_xor_b32 s7, s7, s6
	s_sub_i32 s7, s7, s6
	s_delay_alu instid0(SALU_CYCLE_1) | instskip(NEXT) | instid1(SALU_CYCLE_1)
	s_mul_i32 s6, s7, s15
	s_sub_i32 s8, s2, s6
	s_add_i32 s9, s6, s7
	s_max_i32 s8, s8, 0
	s_cmp_gt_i32 s9, s2
	s_cselect_b32 s2, s8, s7
	s_mov_b32 s8, 0
	s_mov_b32 s7, exec_lo
	v_cmpx_gt_i32_e64 s2, v0
	s_cbranch_execz .LBB1_6
; %bb.1:
	s_load_b32 s9, s[4:5], 0xc
	s_load_b128 s[12:15], s[0:1], 0x0
	s_ashr_i32 s7, s6, 31
	s_mul_i32 s10, s6, s3
	s_lshl_b64 s[4:5], s[6:7], 2
	s_ashr_i32 s11, s10, 31
	v_mul_lo_u32 v1, v0, s3
	v_mov_b32_e32 v3, 0
	s_waitcnt lgkmcnt(0)
	s_and_b32 s1, s9, 0xffff
	s_add_u32 s4, s14, s4
	s_addc_u32 s5, s15, s5
	s_cmp_gt_i32 s3, 0
	s_mul_i32 s6, s3, s1
	s_cselect_b32 s7, -1, 0
	s_lshl_b64 s[10:11], s[10:11], 2
	s_delay_alu instid0(SALU_CYCLE_1)
	s_add_u32 s9, s12, s10
	s_addc_u32 s10, s13, s11
	s_mov_b32 s11, 0
	s_set_inst_prefetch_distance 0x1
	s_branch .LBB1_3
	.p2align	6
.LBB1_2:                                ;   in Loop: Header=BB1_3 Depth=1
	v_add_nc_u32_e32 v2, s11, v0
	s_add_i32 s11, s11, s1
	v_add_nc_u32_e32 v1, s6, v1
	v_add_nc_u32_e32 v7, s11, v0
	s_delay_alu instid0(VALU_DEP_3) | instskip(NEXT) | instid1(VALU_DEP_2)
	v_lshlrev_b64 v[4:5], 2, v[2:3]
	v_cmp_le_i32_e32 vcc_lo, s2, v7
	s_delay_alu instid0(VALU_DEP_2) | instskip(NEXT) | instid1(VALU_DEP_1)
	v_add_co_u32 v4, s0, s4, v4
	v_add_co_ci_u32_e64 v5, s0, s5, v5, s0
	s_or_b32 s8, vcc_lo, s8
	global_store_b32 v[4:5], v6, off
	s_and_not1_b32 exec_lo, exec_lo, s8
	s_cbranch_execz .LBB1_6
.LBB1_3:                                ; =>This Loop Header: Depth=1
                                        ;     Child Loop BB1_5 Depth 2
	v_mov_b32_e32 v6, 0
	s_and_not1_b32 vcc_lo, exec_lo, s7
	s_cbranch_vccnz .LBB1_2
; %bb.4:                                ;   in Loop: Header=BB1_3 Depth=1
	v_mov_b32_e32 v2, v3
	v_mov_b32_e32 v6, 0
	s_mov_b32 s0, s3
	s_delay_alu instid0(VALU_DEP_2) | instskip(NEXT) | instid1(VALU_DEP_1)
	v_lshlrev_b64 v[4:5], 2, v[1:2]
	v_add_co_u32 v4, vcc_lo, s9, v4
	s_delay_alu instid0(VALU_DEP_2)
	v_add_co_ci_u32_e32 v5, vcc_lo, s10, v5, vcc_lo
.LBB1_5:                                ;   Parent Loop BB1_3 Depth=1
                                        ; =>  This Inner Loop Header: Depth=2
	global_load_b32 v2, v[4:5], off
	v_add_co_u32 v4, vcc_lo, v4, 4
	v_add_co_ci_u32_e32 v5, vcc_lo, 0, v5, vcc_lo
	s_add_i32 s0, s0, -1
	s_delay_alu instid0(SALU_CYCLE_1) | instskip(SKIP_2) | instid1(VALU_DEP_1)
	s_cmp_eq_u32 s0, 0
	s_waitcnt vmcnt(0)
	v_not_b32_e32 v2, v2
	v_lshrrev_b32_e32 v2, 31, v2
	s_delay_alu instid0(VALU_DEP_1)
	v_add_nc_u32_e32 v6, v6, v2
	s_cbranch_scc0 .LBB1_5
	s_branch .LBB1_2
.LBB1_6:
	s_set_inst_prefetch_distance 0x2
	s_nop 0
	s_sendmsg sendmsg(MSG_DEALLOC_VGPRS)
	s_endpgm
	.section	.rodata,"a",@progbits
	.p2align	6, 0x0
	.amdhsa_kernel _Z15compute_degreesPiS_ii
		.amdhsa_group_segment_fixed_size 0
		.amdhsa_private_segment_fixed_size 0
		.amdhsa_kernarg_size 280
		.amdhsa_user_sgpr_count 15
		.amdhsa_user_sgpr_dispatch_ptr 0
		.amdhsa_user_sgpr_queue_ptr 0
		.amdhsa_user_sgpr_kernarg_segment_ptr 1
		.amdhsa_user_sgpr_dispatch_id 0
		.amdhsa_user_sgpr_private_segment_size 0
		.amdhsa_wavefront_size32 1
		.amdhsa_uses_dynamic_stack 0
		.amdhsa_enable_private_segment 0
		.amdhsa_system_sgpr_workgroup_id_x 1
		.amdhsa_system_sgpr_workgroup_id_y 0
		.amdhsa_system_sgpr_workgroup_id_z 0
		.amdhsa_system_sgpr_workgroup_info 0
		.amdhsa_system_vgpr_workitem_id 0
		.amdhsa_next_free_vgpr 8
		.amdhsa_next_free_sgpr 16
		.amdhsa_reserve_vcc 1
		.amdhsa_float_round_mode_32 0
		.amdhsa_float_round_mode_16_64 0
		.amdhsa_float_denorm_mode_32 3
		.amdhsa_float_denorm_mode_16_64 3
		.amdhsa_dx10_clamp 1
		.amdhsa_ieee_mode 1
		.amdhsa_fp16_overflow 0
		.amdhsa_workgroup_processor_mode 1
		.amdhsa_memory_ordered 1
		.amdhsa_forward_progress 0
		.amdhsa_shared_vgpr_count 0
		.amdhsa_exception_fp_ieee_invalid_op 0
		.amdhsa_exception_fp_denorm_src 0
		.amdhsa_exception_fp_ieee_div_zero 0
		.amdhsa_exception_fp_ieee_overflow 0
		.amdhsa_exception_fp_ieee_underflow 0
		.amdhsa_exception_fp_ieee_inexact 0
		.amdhsa_exception_int_div_zero 0
	.end_amdhsa_kernel
	.text
.Lfunc_end1:
	.size	_Z15compute_degreesPiS_ii, .Lfunc_end1-_Z15compute_degreesPiS_ii
                                        ; -- End function
	.section	.AMDGPU.csdata,"",@progbits
; Kernel info:
; codeLenInByte = 532
; NumSgprs: 18
; NumVgprs: 8
; ScratchSize: 0
; MemoryBound: 0
; FloatMode: 240
; IeeeMode: 1
; LDSByteSize: 0 bytes/workgroup (compile time only)
; SGPRBlocks: 2
; VGPRBlocks: 0
; NumSGPRsForWavesPerEU: 18
; NumVGPRsForWavesPerEU: 8
; Occupancy: 16
; WaveLimiterHint : 0
; COMPUTE_PGM_RSRC2:SCRATCH_EN: 0
; COMPUTE_PGM_RSRC2:USER_SGPR: 15
; COMPUTE_PGM_RSRC2:TRAP_HANDLER: 0
; COMPUTE_PGM_RSRC2:TGID_X_EN: 1
; COMPUTE_PGM_RSRC2:TGID_Y_EN: 0
; COMPUTE_PGM_RSRC2:TGID_Z_EN: 0
; COMPUTE_PGM_RSRC2:TIDIG_COMP_CNT: 0
	.text
	.protected	_Z26update_clustered_pnts_maskPcS_i ; -- Begin function _Z26update_clustered_pnts_maskPcS_i
	.globl	_Z26update_clustered_pnts_maskPcS_i
	.p2align	8
	.type	_Z26update_clustered_pnts_maskPcS_i,@function
_Z26update_clustered_pnts_maskPcS_i:    ; @_Z26update_clustered_pnts_maskPcS_i
; %bb.0:
	s_load_b32 s2, s[0:1], 0x10
	s_mov_b32 s3, exec_lo
	s_waitcnt lgkmcnt(0)
	v_cmpx_gt_i32_e64 s2, v0
	s_cbranch_execz .LBB2_3
; %bb.1:
	s_clause 0x1
	s_load_b64 s[8:9], s[0:1], 0x24
	s_load_b128 s[4:7], s[0:1], 0x0
	s_waitcnt lgkmcnt(0)
	s_lshr_b32 s1, s8, 16
	s_and_b32 s8, s8, 0xffff
	v_add_co_u32 v1, s6, s6, v0
	v_add_co_u32 v3, s4, s4, v0
	s_and_b32 s0, s9, 0xffff
	s_mul_i32 s1, s1, s8
	v_add_co_ci_u32_e64 v2, null, s7, 0, s6
	v_add_co_ci_u32_e64 v4, null, s5, 0, s4
	s_mul_i32 s4, s1, s0
	s_mov_b64 s[0:1], 0
	s_ashr_i32 s5, s4, 31
	s_mov_b32 s6, 0
	.p2align	6
.LBB2_2:                                ; =>This Inner Loop Header: Depth=1
	v_add_co_u32 v5, vcc_lo, v1, s0
	v_add_co_ci_u32_e32 v6, vcc_lo, s1, v2, vcc_lo
	v_add_co_u32 v7, vcc_lo, v3, s0
	v_add_co_ci_u32_e32 v8, vcc_lo, s1, v4, vcc_lo
	s_add_u32 s0, s0, s4
	global_load_u8 v5, v[5:6], off
	global_load_u8 v6, v[7:8], off
	v_add_nc_u32_e32 v9, s0, v0
	s_addc_u32 s1, s1, s5
	s_delay_alu instid0(VALU_DEP_1)
	v_cmp_le_i32_e32 vcc_lo, s2, v9
	s_or_b32 s6, vcc_lo, s6
	s_waitcnt vmcnt(0)
	v_or_b32_e32 v5, v6, v5
	global_store_b8 v[7:8], v5, off
	s_and_not1_b32 exec_lo, exec_lo, s6
	s_cbranch_execnz .LBB2_2
.LBB2_3:
	s_or_b32 exec_lo, exec_lo, s3
	s_waitcnt_vscnt null, 0x0
	s_barrier
	buffer_gl0_inv
	s_endpgm
	.section	.rodata,"a",@progbits
	.p2align	6, 0x0
	.amdhsa_kernel _Z26update_clustered_pnts_maskPcS_i
		.amdhsa_group_segment_fixed_size 0
		.amdhsa_private_segment_fixed_size 0
		.amdhsa_kernarg_size 280
		.amdhsa_user_sgpr_count 15
		.amdhsa_user_sgpr_dispatch_ptr 0
		.amdhsa_user_sgpr_queue_ptr 0
		.amdhsa_user_sgpr_kernarg_segment_ptr 1
		.amdhsa_user_sgpr_dispatch_id 0
		.amdhsa_user_sgpr_private_segment_size 0
		.amdhsa_wavefront_size32 1
		.amdhsa_uses_dynamic_stack 0
		.amdhsa_enable_private_segment 0
		.amdhsa_system_sgpr_workgroup_id_x 1
		.amdhsa_system_sgpr_workgroup_id_y 0
		.amdhsa_system_sgpr_workgroup_id_z 0
		.amdhsa_system_sgpr_workgroup_info 0
		.amdhsa_system_vgpr_workitem_id 0
		.amdhsa_next_free_vgpr 10
		.amdhsa_next_free_sgpr 10
		.amdhsa_reserve_vcc 1
		.amdhsa_float_round_mode_32 0
		.amdhsa_float_round_mode_16_64 0
		.amdhsa_float_denorm_mode_32 3
		.amdhsa_float_denorm_mode_16_64 3
		.amdhsa_dx10_clamp 1
		.amdhsa_ieee_mode 1
		.amdhsa_fp16_overflow 0
		.amdhsa_workgroup_processor_mode 1
		.amdhsa_memory_ordered 1
		.amdhsa_forward_progress 0
		.amdhsa_shared_vgpr_count 0
		.amdhsa_exception_fp_ieee_invalid_op 0
		.amdhsa_exception_fp_denorm_src 0
		.amdhsa_exception_fp_ieee_div_zero 0
		.amdhsa_exception_fp_ieee_overflow 0
		.amdhsa_exception_fp_ieee_underflow 0
		.amdhsa_exception_fp_ieee_inexact 0
		.amdhsa_exception_int_div_zero 0
	.end_amdhsa_kernel
	.text
.Lfunc_end2:
	.size	_Z26update_clustered_pnts_maskPcS_i, .Lfunc_end2-_Z26update_clustered_pnts_maskPcS_i
                                        ; -- End function
	.section	.AMDGPU.csdata,"",@progbits
; Kernel info:
; codeLenInByte = 236
; NumSgprs: 12
; NumVgprs: 10
; ScratchSize: 0
; MemoryBound: 0
; FloatMode: 240
; IeeeMode: 1
; LDSByteSize: 0 bytes/workgroup (compile time only)
; SGPRBlocks: 1
; VGPRBlocks: 1
; NumSGPRsForWavesPerEU: 12
; NumVGPRsForWavesPerEU: 10
; Occupancy: 16
; WaveLimiterHint : 0
; COMPUTE_PGM_RSRC2:SCRATCH_EN: 0
; COMPUTE_PGM_RSRC2:USER_SGPR: 15
; COMPUTE_PGM_RSRC2:TRAP_HANDLER: 0
; COMPUTE_PGM_RSRC2:TGID_X_EN: 1
; COMPUTE_PGM_RSRC2:TGID_Y_EN: 0
; COMPUTE_PGM_RSRC2:TGID_Z_EN: 0
; COMPUTE_PGM_RSRC2:TIDIG_COMP_CNT: 0
	.text
	.p2align	2                               ; -- Begin function _Z42generate_candidate_cluster_compact_storageiiPcPfS_PiS0_iiiS1_f
	.type	_Z42generate_candidate_cluster_compact_storageiiPcPfS_PiS0_iiiS1_f,@function
_Z42generate_candidate_cluster_compact_storageiiPcPfS_PiS0_iiiS1_f: ; @_Z42generate_candidate_cluster_compact_storageiiPcPfS_PiS0_iiiS1_f
; %bb.0:
	s_waitcnt vmcnt(0) expcnt(0) lgkmcnt(0)
	s_or_saveexec_b32 s0, -1
	scratch_store_b32 off, v40, s32         ; 4-byte Folded Spill
	s_mov_b32 exec_lo, s0
	v_writelane_b32 v40, s34, 0
	v_writelane_b32 v40, s35, 1
	;; [unrolled: 1-line block ×4, first 2 shown]
	s_clause 0x1
	s_load_b64 s[0:1], s[8:9], 0x0
	s_load_b32 s4, s[8:9], 0x8
	v_mov_b32_e32 v18, 0
	s_waitcnt lgkmcnt(0)
	s_cmp_lt_u32 s12, s0
	s_cselect_b32 s0, 12, 18
	s_delay_alu instid0(SALU_CYCLE_1) | instskip(SKIP_4) | instid1(SALU_CYCLE_1)
	s_add_u32 s2, s8, s0
	s_addc_u32 s3, s9, 0
	s_cmp_lt_u32 s13, s1
	s_mov_b32 s13, exec_lo
	s_cselect_b32 s0, 14, 20
	s_add_u32 s0, s8, s0
	s_addc_u32 s1, s9, 0
	s_cmp_lt_u32 s14, s4
	s_clause 0x1
	global_load_u16 v19, v18, s[2:3]
	global_load_u16 v17, v18, s[0:1]
	s_cselect_b32 s4, 16, 22
	s_delay_alu instid0(SALU_CYCLE_1)
	s_add_u32 s0, s8, s4
	s_addc_u32 s1, s9, 0
	global_load_u16 v20, v18, s[0:1]
	s_waitcnt vmcnt(2)
	v_readfirstlane_b32 s1, v19
	s_waitcnt vmcnt(1)
	v_readfirstlane_b32 s0, v17
	v_and_b32_e32 v17, 0x3ff, v31
	s_delay_alu instid0(VALU_DEP_2) | instskip(SKIP_2) | instid1(VALU_DEP_1)
	s_mul_i32 s0, s0, s1
	s_waitcnt vmcnt(0)
	v_readfirstlane_b32 s2, v20
	s_mul_i32 s12, s0, s2
	v_cmpx_lt_i32_e64 v17, v12
	s_cbranch_execz .LBB3_8
; %bb.1:
	v_cvt_f32_u32_e32 v19, s12
	s_sub_i32 s0, 0, s12
	v_add_nc_u32_e32 v21, s12, v17
	s_mov_b32 s14, exec_lo
	s_delay_alu instid0(VALU_DEP_2) | instskip(NEXT) | instid1(VALU_DEP_1)
	v_rcp_iflag_f32_e32 v19, v19
	v_cmp_lt_i32_e32 vcc_lo, v21, v12
	v_max_i32_e32 v22, v12, v21
	s_waitcnt_depctr 0xfff
	v_mul_f32_e32 v19, 0x4f7ffffe, v19
	s_delay_alu instid0(VALU_DEP_1) | instskip(NEXT) | instid1(VALU_DEP_1)
	v_cvt_u32_f32_e32 v19, v19
	v_mul_lo_u32 v20, s0, v19
	v_add_co_ci_u32_e64 v21, s0, s12, v17, vcc_lo
	s_delay_alu instid0(VALU_DEP_1) | instskip(NEXT) | instid1(VALU_DEP_3)
	v_sub_nc_u32_e32 v21, v22, v21
	v_mul_hi_u32 v20, v19, v20
	s_delay_alu instid0(VALU_DEP_1) | instskip(NEXT) | instid1(VALU_DEP_1)
	v_add_nc_u32_e32 v19, v19, v20
	v_mul_hi_u32 v19, v21, v19
	s_delay_alu instid0(VALU_DEP_1) | instskip(NEXT) | instid1(VALU_DEP_1)
	v_mul_lo_u32 v20, v19, s12
	v_sub_nc_u32_e32 v20, v21, v20
	v_add_nc_u32_e32 v21, 1, v19
	s_delay_alu instid0(VALU_DEP_2) | instskip(SKIP_1) | instid1(VALU_DEP_1)
	v_subrev_nc_u32_e32 v22, s12, v20
	v_cmp_le_u32_e64 s0, s12, v20
	v_cndmask_b32_e64 v19, v19, v21, s0
	s_delay_alu instid0(VALU_DEP_3) | instskip(NEXT) | instid1(VALU_DEP_2)
	v_cndmask_b32_e64 v20, v20, v22, s0
	v_add_nc_u32_e32 v21, 1, v19
	s_delay_alu instid0(VALU_DEP_2) | instskip(NEXT) | instid1(VALU_DEP_1)
	v_cmp_le_u32_e64 s0, s12, v20
	v_cndmask_b32_e64 v19, v19, v21, s0
	s_mov_b32 s0, -1
	s_delay_alu instid0(VALU_DEP_1) | instskip(NEXT) | instid1(VALU_DEP_1)
	v_add_co_ci_u32_e32 v19, vcc_lo, 1, v19, vcc_lo
	v_cmpx_lt_u32_e32 3, v19
	s_cbranch_execz .LBB3_5
; %bb.2:
	v_dual_mov_b32 v21, v17 :: v_dual_and_b32 v20, -4, v19
	s_mul_i32 s7, s12, 3
	s_lshl_b32 s6, s12, 1
	v_dual_mov_b32 v18, v17 :: v_dual_mov_b32 v23, 0
	v_mov_b32_e32 v22, v17
	v_mov_b32_e32 v24, v20
	s_mov_b32 s4, 0
	s_lshl_b32 s15, s12, 2
	s_mov_b32 s5, s12
	s_mov_b64 s[10:11], s[6:7]
	s_mov_b32 s16, s15
	s_mov_b32 s17, s15
	;; [unrolled: 1-line block ×3, first 2 shown]
	s_mov_b64 s[8:9], s[4:5]
	s_set_inst_prefetch_distance 0x1
	.p2align	6
.LBB3_3:                                ; =>This Inner Loop Header: Depth=1
	v_add_nc_u32_e32 v26, s8, v17
	v_add_nc_u32_e32 v25, s9, v18
	;; [unrolled: 1-line block ×4, first 2 shown]
	v_add_nc_u32_e32 v24, -4, v24
	v_ashrrev_i32_e32 v32, 31, v26
	v_ashrrev_i32_e32 v34, 31, v25
	;; [unrolled: 1-line block ×4, first 2 shown]
	v_cmp_eq_u32_e64 s2, 0, v24
	v_add_co_u32 v31, s3, v1, v26
	v_add_co_u32 v25, vcc_lo, v1, v25
	v_add_co_u32 v27, s0, v1, v27
	v_add_co_ci_u32_e64 v32, s3, v2, v32, s3
	v_add_co_u32 v29, s1, v1, v28
	v_add_co_ci_u32_e32 v26, vcc_lo, v2, v34, vcc_lo
	s_add_i32 s11, s11, s18
	s_add_i32 s10, s10, s17
	;; [unrolled: 1-line block ×4, first 2 shown]
	v_add_co_ci_u32_e64 v28, vcc_lo, v2, v33, s0
	v_add_co_ci_u32_e64 v30, vcc_lo, v2, v30, s1
	s_or_b32 s4, s2, s4
	s_clause 0x3
	flat_store_b8 v[31:32], v23
	flat_store_b8 v[25:26], v23
	;; [unrolled: 1-line block ×4, first 2 shown]
	s_and_not1_b32 exec_lo, exec_lo, s4
	s_cbranch_execnz .LBB3_3
; %bb.4:
	s_set_inst_prefetch_distance 0x2
	s_or_b32 exec_lo, exec_lo, s4
	v_mul_lo_u32 v18, v20, s12
	v_cmp_ne_u32_e32 vcc_lo, v19, v20
	s_or_not1_b32 s0, vcc_lo, exec_lo
.LBB3_5:
	s_or_b32 exec_lo, exec_lo, s14
	s_delay_alu instid0(SALU_CYCLE_1)
	s_and_b32 exec_lo, exec_lo, s0
	s_cbranch_execz .LBB3_8
; %bb.6:
	v_add_co_u32 v20, vcc_lo, v1, v17
	v_mov_b32_e32 v19, 0
	v_add_co_ci_u32_e32 v21, vcc_lo, 0, v2, vcc_lo
	v_ashrrev_i32_e32 v22, 31, v18
	s_ashr_i32 s1, s12, 31
	s_mov_b32 s2, 0
.LBB3_7:                                ; =>This Inner Loop Header: Depth=1
	v_add_co_u32 v23, vcc_lo, v20, v18
	v_add_co_u32 v18, s0, v18, s12
	v_add_co_ci_u32_e32 v24, vcc_lo, v21, v22, vcc_lo
	v_add_co_ci_u32_e64 v22, vcc_lo, s1, v22, s0
	s_delay_alu instid0(VALU_DEP_3) | instskip(SKIP_3) | instid1(SALU_CYCLE_1)
	v_add_nc_u32_e32 v25, v17, v18
	flat_store_b8 v[23:24], v19
	v_cmp_ge_i32_e32 vcc_lo, v25, v12
	s_or_b32 s2, vcc_lo, s2
	s_and_not1_b32 exec_lo, exec_lo, s2
	s_cbranch_execnz .LBB3_7
.LBB3_8:
	s_or_b32 exec_lo, exec_lo, s13
	v_cmp_lt_i32_e32 vcc_lo, v17, v13
	v_lshlrev_b32_e32 v55, 2, v17
	s_and_saveexec_b32 s4, vcc_lo
	s_cbranch_execz .LBB3_11
; %bb.9:
	s_delay_alu instid0(VALU_DEP_1)
	v_add_co_u32 v18, s0, v9, v55
	v_mov_b32_e32 v12, 0
	v_add_co_ci_u32_e64 v19, s0, 0, v10, s0
	v_mov_b32_e32 v20, v17
	s_ashr_i32 s13, s12, 31
	s_mov_b32 s5, 0
	s_lshl_b64 s[2:3], s[12:13], 2
.LBB3_10:                               ; =>This Inner Loop Header: Depth=1
	s_delay_alu instid0(VALU_DEP_1) | instskip(SKIP_2) | instid1(VALU_DEP_1)
	v_add_nc_u32_e32 v20, s12, v20
	flat_store_b32 v[18:19], v12
	v_add_co_u32 v18, s1, v18, s2
	v_add_co_ci_u32_e64 v19, s1, s3, v19, s1
	v_cmp_ge_i32_e64 s0, v20, v13
	s_delay_alu instid0(VALU_DEP_1) | instskip(NEXT) | instid1(SALU_CYCLE_1)
	s_or_b32 s5, s0, s5
	s_and_not1_b32 exec_lo, exec_lo, s5
	s_cbranch_execnz .LBB3_10
.LBB3_11:
	s_or_b32 exec_lo, exec_lo, s4
	v_cmp_eq_u32_e64 s0, 0, v17
	s_delay_alu instid0(VALU_DEP_1)
	s_and_saveexec_b32 s2, s0
	s_cbranch_execz .LBB3_15
; %bb.12:
	s_mov_b32 s3, exec_lo
	v_cmpx_ne_u64_e32 0, v[14:15]
	s_cbranch_execz .LBB3_14
; %bb.13:
	flat_store_b32 v[14:15], v0
.LBB3_14:
	s_or_b32 exec_lo, exec_lo, s3
	v_ashrrev_i32_e32 v12, 31, v0
	v_add_co_u32 v18, s1, v1, v0
	s_delay_alu instid0(VALU_DEP_1)
	v_add_co_ci_u32_e64 v19, s1, v2, v12, s1
	v_mov_b32_e32 v12, 1
	flat_store_b8 v[18:19], v12
.LBB3_15:
	s_or_b32 exec_lo, exec_lo, s2
	v_mul_lo_u32 v66, v13, v0
	v_dual_mov_b32 v12, 8 :: v_dual_mov_b32 v103, -1
	v_mov_b32_e32 v112, -1
	s_waitcnt lgkmcnt(0)
	s_waitcnt_vscnt null, 0x0
	s_barrier
	buffer_gl0_inv
	s_and_saveexec_b32 s1, vcc_lo
	s_cbranch_execz .LBB3_17
; %bb.16:
	v_add_nc_u32_e32 v18, v66, v17
	s_delay_alu instid0(VALU_DEP_1) | instskip(NEXT) | instid1(VALU_DEP_1)
	v_ashrrev_i32_e32 v19, 31, v18
	v_lshlrev_b64 v[18:19], 2, v[18:19]
	s_delay_alu instid0(VALU_DEP_1) | instskip(NEXT) | instid1(VALU_DEP_2)
	v_add_co_u32 v18, vcc_lo, v7, v18
	v_add_co_ci_u32_e32 v19, vcc_lo, v8, v19, vcc_lo
	flat_load_b32 v112, v[18:19]
	s_waitcnt vmcnt(0) lgkmcnt(0)
	v_lshrrev_b32_e32 v12, 28, v112
	s_delay_alu instid0(VALU_DEP_1)
	v_and_b32_e32 v12, 8, v12
.LBB3_17:
	s_or_b32 exec_lo, exec_lo, s1
	v_dual_mov_b32 v102, -1 :: v_dual_mov_b32 v101, -1
	v_dual_mov_b32 v100, -1 :: v_dual_mov_b32 v99, -1
	;; [unrolled: 1-line block ×4, first 2 shown]
	v_mov_b32_e32 v84, -1
	v_mov_b32_e32 v68, -1
	s_mov_b32 s1, exec_lo
	v_cmpx_eq_u32_e32 0, v12
	s_cbranch_execz .LBB3_61
; %bb.18:
	v_dual_mov_b32 v103, -1 :: v_dual_add_nc_u32 v12, s12, v17
	v_mov_b32_e32 v18, 8
	v_mov_b32_e32 v102, -1
	s_mov_b32 s2, exec_lo
	s_delay_alu instid0(VALU_DEP_3)
	v_cmpx_lt_i32_e64 v12, v13
	s_cbranch_execz .LBB3_20
; %bb.19:
	v_add_nc_u32_e32 v18, v12, v66
	s_delay_alu instid0(VALU_DEP_1) | instskip(NEXT) | instid1(VALU_DEP_1)
	v_ashrrev_i32_e32 v19, 31, v18
	v_lshlrev_b64 v[18:19], 2, v[18:19]
	s_delay_alu instid0(VALU_DEP_1) | instskip(NEXT) | instid1(VALU_DEP_2)
	v_add_co_u32 v18, vcc_lo, v7, v18
	v_add_co_ci_u32_e32 v19, vcc_lo, v8, v19, vcc_lo
	flat_load_b32 v103, v[18:19]
	s_waitcnt vmcnt(0) lgkmcnt(0)
	v_lshrrev_b32_e32 v18, 28, v103
	s_delay_alu instid0(VALU_DEP_1)
	v_and_b32_e32 v18, 8, v18
.LBB3_20:
	s_or_b32 exec_lo, exec_lo, s2
	v_dual_mov_b32 v101, -1 :: v_dual_mov_b32 v100, -1
	v_dual_mov_b32 v99, -1 :: v_dual_mov_b32 v96, -1
	;; [unrolled: 1-line block ×4, first 2 shown]
	v_mov_b32_e32 v68, -1
	s_mov_b32 s4, 0
	s_mov_b32 s2, exec_lo
	v_cmpx_eq_u32_e32 0, v18
	s_cbranch_execz .LBB3_60
; %bb.21:
	v_dual_mov_b32 v101, -1 :: v_dual_add_nc_u32 v12, s12, v12
	v_mov_b32_e32 v102, -1
	s_mov_b32 s3, exec_lo
	s_delay_alu instid0(VALU_DEP_2)
	v_cmpx_lt_i32_e64 v12, v13
	s_cbranch_execz .LBB3_23
; %bb.22:
	v_add_nc_u32_e32 v18, v12, v66
	s_delay_alu instid0(VALU_DEP_1) | instskip(NEXT) | instid1(VALU_DEP_1)
	v_ashrrev_i32_e32 v19, 31, v18
	v_lshlrev_b64 v[18:19], 2, v[18:19]
	s_delay_alu instid0(VALU_DEP_1) | instskip(NEXT) | instid1(VALU_DEP_2)
	v_add_co_u32 v18, vcc_lo, v7, v18
	v_add_co_ci_u32_e32 v19, vcc_lo, v8, v19, vcc_lo
	flat_load_b32 v102, v[18:19]
	s_waitcnt vmcnt(0) lgkmcnt(0)
	v_cmp_lt_i32_e32 vcc_lo, -1, v102
	s_and_b32 s4, vcc_lo, exec_lo
.LBB3_23:
	s_or_b32 exec_lo, exec_lo, s3
	v_dual_mov_b32 v100, -1 :: v_dual_mov_b32 v99, -1
	v_dual_mov_b32 v96, -1 :: v_dual_mov_b32 v87, -1
	;; [unrolled: 1-line block ×3, first 2 shown]
	v_mov_b32_e32 v84, -1
	v_mov_b32_e32 v68, -1
	s_and_saveexec_b32 s3, s4
	s_cbranch_execz .LBB3_59
; %bb.24:
	v_dual_mov_b32 v101, -1 :: v_dual_add_nc_u32 v12, s12, v12
	v_mov_b32_e32 v100, -1
	s_mov_b32 s5, 0
	s_mov_b32 s4, exec_lo
	s_delay_alu instid0(VALU_DEP_2)
	v_cmpx_lt_i32_e64 v12, v13
	s_cbranch_execz .LBB3_26
; %bb.25:
	v_add_nc_u32_e32 v18, v12, v66
	s_delay_alu instid0(VALU_DEP_1) | instskip(NEXT) | instid1(VALU_DEP_1)
	v_ashrrev_i32_e32 v19, 31, v18
	v_lshlrev_b64 v[18:19], 2, v[18:19]
	s_delay_alu instid0(VALU_DEP_1) | instskip(NEXT) | instid1(VALU_DEP_2)
	v_add_co_u32 v18, vcc_lo, v7, v18
	v_add_co_ci_u32_e32 v19, vcc_lo, v8, v19, vcc_lo
	flat_load_b32 v101, v[18:19]
	s_waitcnt vmcnt(0) lgkmcnt(0)
	v_cmp_lt_i32_e32 vcc_lo, -1, v101
	s_and_b32 s5, vcc_lo, exec_lo
.LBB3_26:
	s_or_b32 exec_lo, exec_lo, s4
	v_dual_mov_b32 v99, -1 :: v_dual_mov_b32 v96, -1
	v_dual_mov_b32 v87, -1 :: v_dual_mov_b32 v86, -1
	;; [unrolled: 1-line block ×3, first 2 shown]
	v_mov_b32_e32 v68, -1
	s_and_saveexec_b32 s4, s5
	s_cbranch_execz .LBB3_58
; %bb.27:
	v_dual_mov_b32 v99, -1 :: v_dual_add_nc_u32 v12, s12, v12
	v_mov_b32_e32 v100, -1
	s_mov_b32 s6, 0
	s_mov_b32 s5, exec_lo
	s_delay_alu instid0(VALU_DEP_2)
	v_cmpx_lt_i32_e64 v12, v13
	s_cbranch_execz .LBB3_29
; %bb.28:
	v_add_nc_u32_e32 v18, v12, v66
	s_delay_alu instid0(VALU_DEP_1) | instskip(NEXT) | instid1(VALU_DEP_1)
	v_ashrrev_i32_e32 v19, 31, v18
	v_lshlrev_b64 v[18:19], 2, v[18:19]
	s_delay_alu instid0(VALU_DEP_1) | instskip(NEXT) | instid1(VALU_DEP_2)
	v_add_co_u32 v18, vcc_lo, v7, v18
	v_add_co_ci_u32_e32 v19, vcc_lo, v8, v19, vcc_lo
	flat_load_b32 v100, v[18:19]
	s_waitcnt vmcnt(0) lgkmcnt(0)
	v_cmp_lt_i32_e32 vcc_lo, -1, v100
	s_and_b32 s6, vcc_lo, exec_lo
.LBB3_29:
	s_or_b32 exec_lo, exec_lo, s5
	v_dual_mov_b32 v96, -1 :: v_dual_mov_b32 v87, -1
	v_dual_mov_b32 v86, -1 :: v_dual_mov_b32 v67, -1
	v_mov_b32_e32 v84, -1
	v_mov_b32_e32 v68, -1
	s_and_saveexec_b32 s5, s6
	s_cbranch_execz .LBB3_57
; %bb.30:
	v_dual_mov_b32 v99, -1 :: v_dual_add_nc_u32 v12, s12, v12
	v_mov_b32_e32 v96, -1
	s_mov_b32 s7, 0
	s_mov_b32 s6, exec_lo
	s_delay_alu instid0(VALU_DEP_2)
	v_cmpx_lt_i32_e64 v12, v13
	s_cbranch_execz .LBB3_32
; %bb.31:
	v_add_nc_u32_e32 v18, v12, v66
	s_delay_alu instid0(VALU_DEP_1) | instskip(NEXT) | instid1(VALU_DEP_1)
	v_ashrrev_i32_e32 v19, 31, v18
	v_lshlrev_b64 v[18:19], 2, v[18:19]
	s_delay_alu instid0(VALU_DEP_1) | instskip(NEXT) | instid1(VALU_DEP_2)
	v_add_co_u32 v18, vcc_lo, v7, v18
	v_add_co_ci_u32_e32 v19, vcc_lo, v8, v19, vcc_lo
	flat_load_b32 v99, v[18:19]
	s_waitcnt vmcnt(0) lgkmcnt(0)
	v_cmp_lt_i32_e32 vcc_lo, -1, v99
	s_and_b32 s7, vcc_lo, exec_lo
.LBB3_32:
	s_or_b32 exec_lo, exec_lo, s6
	v_dual_mov_b32 v87, -1 :: v_dual_mov_b32 v86, -1
	v_dual_mov_b32 v84, -1 :: v_dual_mov_b32 v67, -1
	v_mov_b32_e32 v68, -1
	s_and_saveexec_b32 s6, s7
	s_cbranch_execz .LBB3_56
; %bb.33:
	v_dual_mov_b32 v87, -1 :: v_dual_add_nc_u32 v12, s12, v12
	v_mov_b32_e32 v96, -1
	s_mov_b32 s8, 0
	s_mov_b32 s7, exec_lo
	s_delay_alu instid0(VALU_DEP_2)
	v_cmpx_lt_i32_e64 v12, v13
	s_cbranch_execz .LBB3_35
; %bb.34:
	v_add_nc_u32_e32 v18, v12, v66
	s_delay_alu instid0(VALU_DEP_1) | instskip(NEXT) | instid1(VALU_DEP_1)
	v_ashrrev_i32_e32 v19, 31, v18
	v_lshlrev_b64 v[18:19], 2, v[18:19]
	s_delay_alu instid0(VALU_DEP_1) | instskip(NEXT) | instid1(VALU_DEP_2)
	v_add_co_u32 v18, vcc_lo, v7, v18
	v_add_co_ci_u32_e32 v19, vcc_lo, v8, v19, vcc_lo
	flat_load_b32 v96, v[18:19]
	s_waitcnt vmcnt(0) lgkmcnt(0)
	v_cmp_lt_i32_e32 vcc_lo, -1, v96
	s_and_b32 s8, vcc_lo, exec_lo
.LBB3_35:
	s_or_b32 exec_lo, exec_lo, s7
	v_dual_mov_b32 v86, -1 :: v_dual_mov_b32 v67, -1
	v_mov_b32_e32 v84, -1
	v_mov_b32_e32 v68, -1
	s_and_saveexec_b32 s7, s8
	s_cbranch_execz .LBB3_55
; %bb.36:
	v_dual_mov_b32 v87, -1 :: v_dual_add_nc_u32 v12, s12, v12
	v_mov_b32_e32 v86, -1
	s_mov_b32 s9, 0
	s_mov_b32 s8, exec_lo
	s_delay_alu instid0(VALU_DEP_2)
	v_cmpx_lt_i32_e64 v12, v13
	s_cbranch_execz .LBB3_38
; %bb.37:
	v_add_nc_u32_e32 v18, v12, v66
	s_delay_alu instid0(VALU_DEP_1) | instskip(NEXT) | instid1(VALU_DEP_1)
	v_ashrrev_i32_e32 v19, 31, v18
	v_lshlrev_b64 v[18:19], 2, v[18:19]
	s_delay_alu instid0(VALU_DEP_1) | instskip(NEXT) | instid1(VALU_DEP_2)
	v_add_co_u32 v18, vcc_lo, v7, v18
	v_add_co_ci_u32_e32 v19, vcc_lo, v8, v19, vcc_lo
	flat_load_b32 v87, v[18:19]
	s_waitcnt vmcnt(0) lgkmcnt(0)
	v_cmp_lt_i32_e32 vcc_lo, -1, v87
	s_and_b32 s9, vcc_lo, exec_lo
.LBB3_38:
	s_or_b32 exec_lo, exec_lo, s8
	v_dual_mov_b32 v84, -1 :: v_dual_mov_b32 v67, -1
	v_mov_b32_e32 v68, -1
	s_and_saveexec_b32 s8, s9
	s_cbranch_execz .LBB3_54
; %bb.39:
	v_add_nc_u32_e32 v12, s12, v12
	v_mov_b32_e32 v84, -1
	v_mov_b32_e32 v86, -1
	s_mov_b32 s10, 0
	s_mov_b32 s9, exec_lo
	v_cmpx_lt_i32_e64 v12, v13
	s_cbranch_execz .LBB3_41
; %bb.40:
	v_add_nc_u32_e32 v18, v12, v66
	s_delay_alu instid0(VALU_DEP_1) | instskip(NEXT) | instid1(VALU_DEP_1)
	v_ashrrev_i32_e32 v19, 31, v18
	v_lshlrev_b64 v[18:19], 2, v[18:19]
	s_delay_alu instid0(VALU_DEP_1) | instskip(NEXT) | instid1(VALU_DEP_2)
	v_add_co_u32 v18, vcc_lo, v7, v18
	v_add_co_ci_u32_e32 v19, vcc_lo, v8, v19, vcc_lo
	flat_load_b32 v86, v[18:19]
	s_waitcnt vmcnt(0) lgkmcnt(0)
	v_cmp_lt_i32_e32 vcc_lo, -1, v86
	s_and_b32 s10, vcc_lo, exec_lo
.LBB3_41:
	s_or_b32 exec_lo, exec_lo, s9
	v_dual_mov_b32 v68, -1 :: v_dual_mov_b32 v67, -1
	s_and_saveexec_b32 s9, s10
	s_cbranch_execz .LBB3_53
; %bb.42:
	v_add_nc_u32_e32 v12, s12, v12
	v_mov_b32_e32 v68, -1
	v_mov_b32_e32 v84, -1
	s_mov_b32 s11, 0
	s_mov_b32 s10, exec_lo
	v_cmpx_lt_i32_e64 v12, v13
	s_cbranch_execz .LBB3_44
; %bb.43:
	v_add_nc_u32_e32 v18, v12, v66
	s_delay_alu instid0(VALU_DEP_1) | instskip(NEXT) | instid1(VALU_DEP_1)
	v_ashrrev_i32_e32 v19, 31, v18
	v_lshlrev_b64 v[18:19], 2, v[18:19]
	s_delay_alu instid0(VALU_DEP_1) | instskip(NEXT) | instid1(VALU_DEP_2)
	v_add_co_u32 v18, vcc_lo, v7, v18
	v_add_co_ci_u32_e32 v19, vcc_lo, v8, v19, vcc_lo
	flat_load_b32 v84, v[18:19]
	s_waitcnt vmcnt(0) lgkmcnt(0)
	v_cmp_lt_i32_e32 vcc_lo, -1, v84
	s_and_b32 s11, vcc_lo, exec_lo
.LBB3_44:
	s_or_b32 exec_lo, exec_lo, s10
	v_mov_b32_e32 v67, -1
	s_and_saveexec_b32 s10, s11
	s_cbranch_execz .LBB3_52
; %bb.45:
	v_dual_mov_b32 v67, -1 :: v_dual_add_nc_u32 v12, s12, v12
	v_mov_b32_e32 v68, -1
	s_mov_b32 s13, 0
	s_mov_b32 s11, exec_lo
	s_delay_alu instid0(VALU_DEP_2)
	v_cmpx_lt_i32_e64 v12, v13
	s_cbranch_execz .LBB3_47
; %bb.46:
	v_add_nc_u32_e32 v18, v12, v66
	s_delay_alu instid0(VALU_DEP_1) | instskip(NEXT) | instid1(VALU_DEP_1)
	v_ashrrev_i32_e32 v19, 31, v18
	v_lshlrev_b64 v[18:19], 2, v[18:19]
	s_delay_alu instid0(VALU_DEP_1) | instskip(NEXT) | instid1(VALU_DEP_2)
	v_add_co_u32 v18, vcc_lo, v7, v18
	v_add_co_ci_u32_e32 v19, vcc_lo, v8, v19, vcc_lo
	flat_load_b32 v68, v[18:19]
	s_waitcnt vmcnt(0) lgkmcnt(0)
	v_cmp_lt_i32_e32 vcc_lo, -1, v68
	s_and_b32 s13, vcc_lo, exec_lo
.LBB3_47:
	s_or_b32 exec_lo, exec_lo, s11
	s_and_saveexec_b32 s11, s13
	s_cbranch_execz .LBB3_51
; %bb.48:
	v_dual_mov_b32 v67, -1 :: v_dual_add_nc_u32 v12, s12, v12
	s_mov_b32 s13, exec_lo
	s_delay_alu instid0(VALU_DEP_1)
	v_cmpx_lt_i32_e64 v12, v13
	s_cbranch_execz .LBB3_50
; %bb.49:
	v_add_nc_u32_e32 v18, v12, v66
	s_delay_alu instid0(VALU_DEP_1) | instskip(NEXT) | instid1(VALU_DEP_1)
	v_ashrrev_i32_e32 v19, 31, v18
	v_lshlrev_b64 v[18:19], 2, v[18:19]
	s_delay_alu instid0(VALU_DEP_1) | instskip(NEXT) | instid1(VALU_DEP_2)
	v_add_co_u32 v18, vcc_lo, v7, v18
	v_add_co_ci_u32_e32 v19, vcc_lo, v8, v19, vcc_lo
	flat_load_b32 v67, v[18:19]
.LBB3_50:
	s_or_b32 exec_lo, exec_lo, s13
.LBB3_51:
	s_delay_alu instid0(SALU_CYCLE_1)
	s_or_b32 exec_lo, exec_lo, s11
.LBB3_52:
	s_delay_alu instid0(SALU_CYCLE_1)
	s_or_b32 exec_lo, exec_lo, s10
.LBB3_53:
	s_delay_alu instid0(SALU_CYCLE_1)
	s_or_b32 exec_lo, exec_lo, s9
.LBB3_54:
	s_delay_alu instid0(SALU_CYCLE_1)
	s_or_b32 exec_lo, exec_lo, s8
.LBB3_55:
	s_delay_alu instid0(SALU_CYCLE_1)
	s_or_b32 exec_lo, exec_lo, s7
.LBB3_56:
	s_delay_alu instid0(SALU_CYCLE_1)
	s_or_b32 exec_lo, exec_lo, s6
.LBB3_57:
	s_delay_alu instid0(SALU_CYCLE_1)
	s_or_b32 exec_lo, exec_lo, s5
.LBB3_58:
	s_delay_alu instid0(SALU_CYCLE_1)
	s_or_b32 exec_lo, exec_lo, s4
.LBB3_59:
	s_delay_alu instid0(SALU_CYCLE_1)
	s_or_b32 exec_lo, exec_lo, s3
.LBB3_60:
	s_delay_alu instid0(SALU_CYCLE_1)
	s_or_b32 exec_lo, exec_lo, s2
.LBB3_61:
	s_delay_alu instid0(SALU_CYCLE_1)
	s_or_b32 exec_lo, exec_lo, s1
	v_mov_b32_e32 v12, 1
	s_mov_b32 s6, 1
	s_mov_b32 s5, exec_lo
	s_waitcnt vmcnt(0) lgkmcnt(0)
	s_barrier
	buffer_gl0_inv
	v_cmpx_lt_i32_e32 1, v11
	s_cbranch_execz .LBB3_385
; %bb.62:
	v_add3_u32 v20, s12, s12, v17
	v_add_co_u32 v18, vcc_lo, v9, v55
	s_ashr_i32 s13, s12, 31
	v_add_co_ci_u32_e32 v19, vcc_lo, 0, v10, vcc_lo
	s_delay_alu instid0(VALU_DEP_3) | instskip(SKIP_3) | instid1(VALU_DEP_3)
	v_dual_mov_b32 v83, 1 :: v_dual_add_nc_u32 v22, s12, v20
	v_ashrrev_i32_e32 v21, 31, v20
	v_add_f32_e32 v71, 1.0, v16
	s_lshl_b64 s[2:3], s[12:13], 2
	v_add_nc_u32_e32 v26, s12, v22
	v_ashrrev_i32_e32 v23, 31, v22
	v_lshlrev_b64 v[24:25], 2, v[20:21]
	v_add_co_u32 v20, vcc_lo, v18, s2
	s_delay_alu instid0(VALU_DEP_4) | instskip(NEXT) | instid1(VALU_DEP_4)
	v_dual_mov_b32 v85, v0 :: v_dual_add_nc_u32 v30, s12, v26
	v_lshlrev_b64 v[28:29], 2, v[22:23]
	v_add_co_ci_u32_e32 v21, vcc_lo, s3, v19, vcc_lo
	v_add_co_u32 v22, vcc_lo, v9, v24
	s_delay_alu instid0(VALU_DEP_4)
	v_ashrrev_i32_e32 v31, 31, v30
	v_add_nc_u32_e32 v32, s12, v30
	v_add_co_ci_u32_e32 v23, vcc_lo, v10, v25, vcc_lo
	v_add_co_u32 v24, vcc_lo, v9, v28
	v_add_co_ci_u32_e32 v25, vcc_lo, v10, v29, vcc_lo
	v_lshlrev_b64 v[28:29], 2, v[30:31]
	v_add_nc_u32_e32 v30, s12, v32
	v_ashrrev_i32_e32 v27, 31, v26
	v_ashrrev_i32_e32 v33, 31, v32
	s_cmp_gt_i32 s12, 1
	v_dual_mul_f32 v69, 0x40400000, v16 :: v_dual_mov_b32 v70, 0
	v_add_nc_u32_e32 v34, s12, v30
	v_lshlrev_b64 v[26:27], 2, v[26:27]
	v_ashrrev_i32_e32 v31, 31, v30
	v_lshlrev_b64 v[32:33], 2, v[32:33]
	s_cselect_b32 s8, -1, 0
	v_add_nc_u32_e32 v38, s12, v34
	v_ashrrev_i32_e32 v35, 31, v34
	v_add_co_u32 v26, vcc_lo, v9, v26
	v_add_co_ci_u32_e32 v27, vcc_lo, v10, v27, vcc_lo
	s_delay_alu instid0(VALU_DEP_4)
	v_add_nc_u32_e32 v48, s12, v38
	v_add_co_u32 v28, vcc_lo, v9, v28
	v_lshlrev_b64 v[36:37], 2, v[30:31]
	v_add_co_ci_u32_e32 v29, vcc_lo, v10, v29, vcc_lo
	v_add_co_u32 v30, vcc_lo, v9, v32
	v_ashrrev_i32_e32 v39, 31, v38
	v_add_nc_u32_e32 v50, s12, v48
	v_add_co_ci_u32_e32 v31, vcc_lo, v10, v33, vcc_lo
	v_lshlrev_b64 v[34:35], 2, v[34:35]
	v_add_co_u32 v32, vcc_lo, v9, v36
	v_ashrrev_i32_e32 v49, 31, v48
	v_add_co_ci_u32_e32 v33, vcc_lo, v10, v37, vcc_lo
	v_lshlrev_b64 v[36:37], 2, v[38:39]
	v_ashrrev_i32_e32 v51, 31, v50
	v_add_co_u32 v34, vcc_lo, v9, v34
	v_lshlrev_b64 v[38:39], 2, v[48:49]
	v_add_co_ci_u32_e32 v35, vcc_lo, v10, v35, vcc_lo
	v_add_co_u32 v36, vcc_lo, v9, v36
	v_lshlrev_b64 v[48:49], 2, v[50:51]
	v_add_co_ci_u32_e32 v37, vcc_lo, v10, v37, vcc_lo
	v_add_co_u32 v38, vcc_lo, v9, v38
	v_add_nc_u32_e32 v80, s12, v50
	s_add_i32 s4, s12, -1
	s_add_i32 s3, s12, -2
	v_add_co_ci_u32_e32 v39, vcc_lo, v10, v39, vcc_lo
	s_and_b32 s9, s4, 3
	v_add_co_u32 v48, vcc_lo, v9, v48
	s_cmp_gt_u32 s3, 2
	v_cmp_ne_u64_e64 s3, 0, v[14:15]
	v_cmp_lt_i32_e64 s1, 0, v13
	v_add_co_ci_u32_e32 v49, vcc_lo, v10, v49, vcc_lo
	v_cmp_lt_i32_e64 s2, v80, v13
	v_dual_mov_b32 v82, -1 :: v_dual_add_nc_u32 v81, 0x100, v55
	s_cselect_b32 s10, -1, 0
	s_and_b32 s11, s4, -4
	s_cmp_lg_u32 s9, 0
	s_mov_b32 s13, 0
	s_cselect_b32 s14, -1, 0
	s_branch .LBB3_65
.LBB3_63:                               ;   in Loop: Header=BB3_65 Depth=1
	s_or_b32 exec_lo, exec_lo, s15
	s_add_i32 s6, s6, 1
.LBB3_64:                               ;   in Loop: Header=BB3_65 Depth=1
	s_delay_alu instid0(SALU_CYCLE_1) | instskip(SKIP_1) | instid1(VALU_DEP_2)
	v_cmp_ge_i32_e32 vcc_lo, s6, v11
	s_xor_b32 s4, s4, -1
	v_dual_mov_b32 v12, s6 :: v_dual_mov_b32 v85, v50
	s_waitcnt lgkmcnt(0)
	s_waitcnt_vscnt null, 0x0
	s_or_b32 s4, vcc_lo, s4
	s_barrier
	s_and_b32 s4, exec_lo, s4
	buffer_gl0_inv
	s_or_b32 s13, s4, s13
	s_delay_alu instid0(SALU_CYCLE_1)
	s_and_not1_b32 exec_lo, exec_lo, s13
	s_cbranch_execz .LBB3_384
.LBB3_65:                               ; =>This Loop Header: Depth=1
                                        ;     Child Loop BB3_74 Depth 2
                                        ;     Child Loop BB3_93 Depth 2
	;; [unrolled: 1-line block ×13, first 2 shown]
                                        ;       Child Loop BB3_320 Depth 3
                                        ;     Child Loop BB3_331 Depth 2
                                        ;     Child Loop BB3_369 Depth 2
	v_mul_lo_u32 v50, v85, v13
	v_dual_mov_b32 v97, -1 :: v_dual_mov_b32 v12, v69
	v_mov_b32_e32 v98, 0
	s_mov_b32 s7, exec_lo
	v_cmpx_lt_i32_e32 -1, v112
	s_cbranch_execz .LBB3_303
; %bb.66:                               ;   in Loop: Header=BB3_65 Depth=1
	v_dual_mov_b32 v98, 0 :: v_dual_mov_b32 v97, -1
	v_mov_b32_e32 v12, v69
	v_mov_b32_e32 v64, v0
	s_mov_b32 s4, exec_lo
	v_cmpx_ne_u32_e64 v112, v0
	s_cbranch_execz .LBB3_84
; %bb.67:                               ;   in Loop: Header=BB3_65 Depth=1
	flat_load_b32 v65, v[18:19]
	v_dual_mov_b32 v97, -1 :: v_dual_mov_b32 v98, 0
	v_mov_b32_e32 v64, v0
	v_mov_b32_e32 v12, v69
	s_mov_b32 s15, exec_lo
	s_waitcnt vmcnt(0) lgkmcnt(0)
	v_cmpx_ngt_f32_e32 v65, v16
	s_cbranch_execz .LBB3_83
; %bb.68:                               ;   in Loop: Header=BB3_65 Depth=1
	v_add_co_u32 v51, vcc_lo, v1, v112
	v_add_co_ci_u32_e32 v52, vcc_lo, 0, v2, vcc_lo
	v_dual_mov_b32 v97, -1 :: v_dual_mov_b32 v98, 0
	v_mov_b32_e32 v64, v0
	flat_load_u8 v12, v[51:52]
	s_waitcnt vmcnt(0) lgkmcnt(0)
	v_cmp_eq_u16_e32 vcc_lo, 0, v12
	v_mov_b32_e32 v12, v69
	s_and_saveexec_b32 s16, vcc_lo
	s_cbranch_execz .LBB3_82
; %bb.69:                               ;   in Loop: Header=BB3_65 Depth=1
	v_add_co_u32 v51, vcc_lo, v5, v112
	v_add_co_ci_u32_e32 v52, vcc_lo, 0, v6, vcc_lo
	v_dual_mov_b32 v97, -1 :: v_dual_mov_b32 v98, 0
	v_mov_b32_e32 v64, v0
	flat_load_u8 v12, v[51:52]
	s_waitcnt vmcnt(0) lgkmcnt(0)
	v_cmp_eq_u16_e32 vcc_lo, 0, v12
	v_mov_b32_e32 v12, v69
	s_and_saveexec_b32 s17, vcc_lo
	s_cbranch_execz .LBB3_81
; %bb.70:                               ;   in Loop: Header=BB3_65 Depth=1
	v_mov_b32_e32 v98, 0
	v_mov_b32_e32 v12, v71
	s_and_saveexec_b32 s18, s1
	s_cbranch_execz .LBB3_78
; %bb.71:                               ;   in Loop: Header=BB3_65 Depth=1
	v_ashrrev_i32_e32 v51, 31, v50
	v_mov_b32_e32 v64, 0
	v_mov_b32_e32 v12, v71
	s_mov_b32 s20, 1
	s_mov_b32 s19, 0
	v_lshlrev_b64 v[53:54], 2, v[50:51]
                                        ; implicit-def: $sgpr21
	s_delay_alu instid0(VALU_DEP_1) | instskip(NEXT) | instid1(VALU_DEP_2)
	v_add_co_u32 v51, vcc_lo, v3, v53
	v_add_co_ci_u32_e32 v52, vcc_lo, v4, v54, vcc_lo
	v_add_co_u32 v53, vcc_lo, v7, v53
	v_add_co_ci_u32_e32 v54, vcc_lo, v8, v54, vcc_lo
	s_set_inst_prefetch_distance 0x1
	s_branch .LBB3_74
	.p2align	6
.LBB3_72:                               ;   in Loop: Header=BB3_74 Depth=2
	s_or_b32 exec_lo, exec_lo, s24
	v_mov_b32_e32 v98, v64
	s_and_not1_b32 s21, s21, exec_lo
	s_and_b32 s23, s23, exec_lo
	s_delay_alu instid0(SALU_CYCLE_1)
	s_or_b32 s21, s21, s23
.LBB3_73:                               ;   in Loop: Header=BB3_74 Depth=2
	s_or_b32 exec_lo, exec_lo, s22
	v_cmp_ge_i32_e32 vcc_lo, s20, v13
	s_xor_b32 s22, s21, -1
	s_add_i32 s20, s20, 1
	v_mov_b32_e32 v64, v98
	s_or_b32 s22, s22, vcc_lo
	v_add_co_u32 v51, vcc_lo, v51, 4
	v_add_co_ci_u32_e32 v52, vcc_lo, 0, v52, vcc_lo
	v_add_co_u32 v53, vcc_lo, v53, 4
	v_add_co_ci_u32_e32 v54, vcc_lo, 0, v54, vcc_lo
	s_and_b32 s22, exec_lo, s22
	s_delay_alu instid0(SALU_CYCLE_1) | instskip(NEXT) | instid1(SALU_CYCLE_1)
	s_or_b32 s19, s22, s19
	s_and_not1_b32 exec_lo, exec_lo, s19
	s_cbranch_execz .LBB3_77
.LBB3_74:                               ;   Parent Loop BB3_65 Depth=1
                                        ; =>  This Inner Loop Header: Depth=2
	flat_load_b32 v97, v[53:54]
	s_add_i32 s22, s20, -1
	s_and_not1_b32 s21, s21, exec_lo
	v_mov_b32_e32 v98, s22
	s_mov_b32 s22, exec_lo
	s_waitcnt vmcnt(0) lgkmcnt(0)
	v_cmpx_le_u32_e64 v97, v112
	s_cbranch_execz .LBB3_73
; %bb.75:                               ;   in Loop: Header=BB3_74 Depth=2
	s_mov_b32 s23, -1
	s_mov_b32 s24, exec_lo
	v_cmpx_eq_u32_e64 v97, v112
	s_cbranch_execz .LBB3_72
; %bb.76:                               ;   in Loop: Header=BB3_74 Depth=2
	flat_load_b32 v12, v[51:52]
	s_xor_b32 s23, exec_lo, -1
	s_branch .LBB3_72
.LBB3_77:                               ;   in Loop: Header=BB3_65 Depth=1
	s_set_inst_prefetch_distance 0x2
	s_or_b32 exec_lo, exec_lo, s19
.LBB3_78:                               ;   in Loop: Header=BB3_65 Depth=1
	s_delay_alu instid0(SALU_CYCLE_1) | instskip(NEXT) | instid1(SALU_CYCLE_1)
	s_or_b32 exec_lo, exec_lo, s18
	s_mov_b32 s18, exec_lo
	s_waitcnt vmcnt(0) lgkmcnt(0)
	v_cmpx_gt_f32_e32 v12, v65
	s_cbranch_execz .LBB3_80
; %bb.79:                               ;   in Loop: Header=BB3_65 Depth=1
	v_mov_b32_e32 v65, v12
	flat_store_b32 v[18:19], v12
.LBB3_80:                               ;   in Loop: Header=BB3_65 Depth=1
	s_or_b32 exec_lo, exec_lo, s18
	v_cmp_lt_f32_e32 vcc_lo, v65, v69
	v_mov_b32_e32 v64, v112
	v_dual_cndmask_b32 v12, v69, v65 :: v_dual_cndmask_b32 v97, -1, v112
.LBB3_81:                               ;   in Loop: Header=BB3_65 Depth=1
	s_or_b32 exec_lo, exec_lo, s17
.LBB3_82:                               ;   in Loop: Header=BB3_65 Depth=1
	s_delay_alu instid0(SALU_CYCLE_1)
	s_or_b32 exec_lo, exec_lo, s16
.LBB3_83:                               ;   in Loop: Header=BB3_65 Depth=1
	s_delay_alu instid0(SALU_CYCLE_1)
	s_or_b32 exec_lo, exec_lo, s15
.LBB3_84:                               ;   in Loop: Header=BB3_65 Depth=1
	s_delay_alu instid0(SALU_CYCLE_1) | instskip(NEXT) | instid1(SALU_CYCLE_1)
	s_or_b32 exec_lo, exec_lo, s4
	s_mov_b32 s15, exec_lo
	v_cmpx_lt_i32_e32 -1, v103
	s_cbranch_execz .LBB3_302
; %bb.85:                               ;   in Loop: Header=BB3_65 Depth=1
	v_mov_b32_e32 v65, v0
	s_mov_b32 s16, exec_lo
	v_cmpx_ne_u32_e64 v103, v0
	s_cbranch_execz .LBB3_103
; %bb.86:                               ;   in Loop: Header=BB3_65 Depth=1
	flat_load_b32 v112, v[20:21]
	v_mov_b32_e32 v65, v0
	s_mov_b32 s17, exec_lo
	s_waitcnt vmcnt(0) lgkmcnt(0)
	v_cmpx_ngt_f32_e32 v112, v16
	s_cbranch_execz .LBB3_102
; %bb.87:                               ;   in Loop: Header=BB3_65 Depth=1
	v_add_co_u32 v51, vcc_lo, v1, v103
	v_add_co_ci_u32_e32 v52, vcc_lo, 0, v2, vcc_lo
	v_mov_b32_e32 v65, v0
	s_mov_b32 s18, exec_lo
	flat_load_u8 v51, v[51:52]
	s_waitcnt vmcnt(0) lgkmcnt(0)
	v_cmpx_eq_u16_e32 0, v51
	s_cbranch_execz .LBB3_101
; %bb.88:                               ;   in Loop: Header=BB3_65 Depth=1
	v_add_co_u32 v51, vcc_lo, v5, v103
	v_add_co_ci_u32_e32 v52, vcc_lo, 0, v6, vcc_lo
	v_mov_b32_e32 v65, v0
	s_mov_b32 s19, exec_lo
	flat_load_u8 v51, v[51:52]
	s_waitcnt vmcnt(0) lgkmcnt(0)
	v_cmpx_eq_u16_e32 0, v51
	s_cbranch_execz .LBB3_100
; %bb.89:                               ;   in Loop: Header=BB3_65 Depth=1
	v_mov_b32_e32 v65, v71
	s_mov_b32 s20, exec_lo
	v_cmpx_lt_i32_e64 v98, v13
	s_cbranch_execz .LBB3_97
; %bb.90:                               ;   in Loop: Header=BB3_65 Depth=1
	v_add_nc_u32_e32 v51, v98, v50
	v_mov_b32_e32 v65, v71
	v_mov_b32_e32 v113, v98
	s_mov_b32 s21, 0
                                        ; implicit-def: $sgpr22
	s_delay_alu instid0(VALU_DEP_3) | instskip(NEXT) | instid1(VALU_DEP_1)
	v_ashrrev_i32_e32 v52, 31, v51
	v_lshlrev_b64 v[53:54], 2, v[51:52]
	s_delay_alu instid0(VALU_DEP_1) | instskip(NEXT) | instid1(VALU_DEP_2)
	v_add_co_u32 v51, vcc_lo, v3, v53
	v_add_co_ci_u32_e32 v52, vcc_lo, v4, v54, vcc_lo
	v_add_co_u32 v53, vcc_lo, v7, v53
	v_add_co_ci_u32_e32 v54, vcc_lo, v8, v54, vcc_lo
	s_set_inst_prefetch_distance 0x1
	s_branch .LBB3_93
	.p2align	6
.LBB3_91:                               ;   in Loop: Header=BB3_93 Depth=2
	s_or_b32 exec_lo, exec_lo, s24
	v_mov_b32_e32 v114, v98
	s_and_not1_b32 s22, s22, exec_lo
	s_and_b32 s23, s23, exec_lo
	s_delay_alu instid0(SALU_CYCLE_1)
	s_or_b32 s22, s22, s23
.LBB3_92:                               ;   in Loop: Header=BB3_93 Depth=2
	s_or_b32 exec_lo, exec_lo, s4
	v_dual_mov_b32 v98, v114 :: v_dual_add_nc_u32 v113, 1, v113
	v_add_co_u32 v51, s4, v51, 4
	s_xor_b32 s23, s22, -1
	s_delay_alu instid0(VALU_DEP_2)
	v_cmp_ge_i32_e32 vcc_lo, v113, v13
	v_add_co_ci_u32_e64 v52, s4, 0, v52, s4
	s_or_b32 s4, s23, vcc_lo
	v_add_co_u32 v53, vcc_lo, v53, 4
	v_add_co_ci_u32_e32 v54, vcc_lo, 0, v54, vcc_lo
	s_and_b32 s4, exec_lo, s4
	s_delay_alu instid0(SALU_CYCLE_1) | instskip(NEXT) | instid1(SALU_CYCLE_1)
	s_or_b32 s21, s4, s21
	s_and_not1_b32 exec_lo, exec_lo, s21
	s_cbranch_execz .LBB3_96
.LBB3_93:                               ;   Parent Loop BB3_65 Depth=1
                                        ; =>  This Inner Loop Header: Depth=2
	flat_load_b32 v115, v[53:54]
	v_mov_b32_e32 v114, v113
	s_and_not1_b32 s22, s22, exec_lo
	s_mov_b32 s4, exec_lo
	s_waitcnt vmcnt(0) lgkmcnt(0)
	v_cmpx_le_u32_e64 v115, v103
	s_cbranch_execz .LBB3_92
; %bb.94:                               ;   in Loop: Header=BB3_93 Depth=2
	s_mov_b32 s23, -1
	s_mov_b32 s24, exec_lo
	v_cmpx_eq_u32_e64 v115, v103
	s_cbranch_execz .LBB3_91
; %bb.95:                               ;   in Loop: Header=BB3_93 Depth=2
	flat_load_b32 v65, v[51:52]
	s_xor_b32 s23, exec_lo, -1
	s_branch .LBB3_91
.LBB3_96:                               ;   in Loop: Header=BB3_65 Depth=1
	s_set_inst_prefetch_distance 0x2
	s_or_b32 exec_lo, exec_lo, s21
	v_mov_b32_e32 v98, v114
.LBB3_97:                               ;   in Loop: Header=BB3_65 Depth=1
	s_or_b32 exec_lo, exec_lo, s20
	s_delay_alu instid0(SALU_CYCLE_1)
	s_mov_b32 s4, exec_lo
	s_waitcnt vmcnt(0) lgkmcnt(0)
	v_cmpx_gt_f32_e32 v65, v112
	s_cbranch_execz .LBB3_99
; %bb.98:                               ;   in Loop: Header=BB3_65 Depth=1
	v_mov_b32_e32 v112, v65
	flat_store_b32 v[20:21], v65
.LBB3_99:                               ;   in Loop: Header=BB3_65 Depth=1
	s_or_b32 exec_lo, exec_lo, s4
	v_cmp_lt_f32_e32 vcc_lo, v112, v12
	v_dual_mov_b32 v65, v103 :: v_dual_cndmask_b32 v12, v12, v112
	v_cndmask_b32_e32 v97, v97, v103, vcc_lo
.LBB3_100:                              ;   in Loop: Header=BB3_65 Depth=1
	s_or_b32 exec_lo, exec_lo, s19
.LBB3_101:                              ;   in Loop: Header=BB3_65 Depth=1
	s_delay_alu instid0(SALU_CYCLE_1)
	s_or_b32 exec_lo, exec_lo, s18
.LBB3_102:                              ;   in Loop: Header=BB3_65 Depth=1
	s_delay_alu instid0(SALU_CYCLE_1)
	s_or_b32 exec_lo, exec_lo, s17
.LBB3_103:                              ;   in Loop: Header=BB3_65 Depth=1
	s_delay_alu instid0(SALU_CYCLE_1) | instskip(NEXT) | instid1(SALU_CYCLE_1)
	s_or_b32 exec_lo, exec_lo, s16
	s_mov_b32 s16, exec_lo
	v_cmpx_lt_i32_e32 -1, v102
	s_cbranch_execz .LBB3_301
; %bb.104:                              ;   in Loop: Header=BB3_65 Depth=1
	v_mov_b32_e32 v103, v0
	s_mov_b32 s17, exec_lo
	v_cmpx_ne_u32_e64 v102, v0
	s_cbranch_execz .LBB3_122
; %bb.105:                              ;   in Loop: Header=BB3_65 Depth=1
	flat_load_b32 v112, v[22:23]
	v_mov_b32_e32 v103, v0
	s_mov_b32 s18, exec_lo
	s_waitcnt vmcnt(0) lgkmcnt(0)
	v_cmpx_ngt_f32_e32 v112, v16
	s_cbranch_execz .LBB3_121
; %bb.106:                              ;   in Loop: Header=BB3_65 Depth=1
	v_add_co_u32 v51, vcc_lo, v1, v102
	v_add_co_ci_u32_e32 v52, vcc_lo, 0, v2, vcc_lo
	v_mov_b32_e32 v103, v0
	s_mov_b32 s19, exec_lo
	flat_load_u8 v51, v[51:52]
	s_waitcnt vmcnt(0) lgkmcnt(0)
	v_cmpx_eq_u16_e32 0, v51
	s_cbranch_execz .LBB3_120
; %bb.107:                              ;   in Loop: Header=BB3_65 Depth=1
	v_add_co_u32 v51, vcc_lo, v5, v102
	v_add_co_ci_u32_e32 v52, vcc_lo, 0, v6, vcc_lo
	v_mov_b32_e32 v103, v0
	s_mov_b32 s20, exec_lo
	flat_load_u8 v51, v[51:52]
	s_waitcnt vmcnt(0) lgkmcnt(0)
	v_cmpx_eq_u16_e32 0, v51
	s_cbranch_execz .LBB3_119
; %bb.108:                              ;   in Loop: Header=BB3_65 Depth=1
	v_mov_b32_e32 v103, v71
	s_mov_b32 s21, exec_lo
	v_cmpx_lt_i32_e64 v98, v13
	s_cbranch_execz .LBB3_116
; %bb.109:                              ;   in Loop: Header=BB3_65 Depth=1
	v_add_nc_u32_e32 v51, v98, v50
	v_mov_b32_e32 v113, v98
	v_mov_b32_e32 v103, v71
	s_mov_b32 s22, 0
                                        ; implicit-def: $sgpr23
	s_delay_alu instid0(VALU_DEP_3) | instskip(NEXT) | instid1(VALU_DEP_1)
	v_ashrrev_i32_e32 v52, 31, v51
	v_lshlrev_b64 v[53:54], 2, v[51:52]
	s_delay_alu instid0(VALU_DEP_1) | instskip(NEXT) | instid1(VALU_DEP_2)
	v_add_co_u32 v51, vcc_lo, v3, v53
	v_add_co_ci_u32_e32 v52, vcc_lo, v4, v54, vcc_lo
	v_add_co_u32 v53, vcc_lo, v7, v53
	v_add_co_ci_u32_e32 v54, vcc_lo, v8, v54, vcc_lo
	s_set_inst_prefetch_distance 0x1
	s_branch .LBB3_112
	.p2align	6
.LBB3_110:                              ;   in Loop: Header=BB3_112 Depth=2
	s_or_b32 exec_lo, exec_lo, s25
	v_mov_b32_e32 v114, v98
	s_and_not1_b32 s23, s23, exec_lo
	s_and_b32 s24, s24, exec_lo
	s_delay_alu instid0(SALU_CYCLE_1)
	s_or_b32 s23, s23, s24
.LBB3_111:                              ;   in Loop: Header=BB3_112 Depth=2
	s_or_b32 exec_lo, exec_lo, s4
	v_dual_mov_b32 v98, v114 :: v_dual_add_nc_u32 v113, 1, v113
	v_add_co_u32 v51, s4, v51, 4
	s_xor_b32 s24, s23, -1
	s_delay_alu instid0(VALU_DEP_2)
	v_cmp_ge_i32_e32 vcc_lo, v113, v13
	v_add_co_ci_u32_e64 v52, s4, 0, v52, s4
	s_or_b32 s4, s24, vcc_lo
	v_add_co_u32 v53, vcc_lo, v53, 4
	v_add_co_ci_u32_e32 v54, vcc_lo, 0, v54, vcc_lo
	s_and_b32 s4, exec_lo, s4
	s_delay_alu instid0(SALU_CYCLE_1) | instskip(NEXT) | instid1(SALU_CYCLE_1)
	s_or_b32 s22, s4, s22
	s_and_not1_b32 exec_lo, exec_lo, s22
	s_cbranch_execz .LBB3_115
.LBB3_112:                              ;   Parent Loop BB3_65 Depth=1
                                        ; =>  This Inner Loop Header: Depth=2
	flat_load_b32 v115, v[53:54]
	v_mov_b32_e32 v114, v113
	s_and_not1_b32 s23, s23, exec_lo
	s_mov_b32 s4, exec_lo
	s_waitcnt vmcnt(0) lgkmcnt(0)
	v_cmpx_le_u32_e64 v115, v102
	s_cbranch_execz .LBB3_111
; %bb.113:                              ;   in Loop: Header=BB3_112 Depth=2
	s_mov_b32 s24, -1
	s_mov_b32 s25, exec_lo
	v_cmpx_eq_u32_e64 v115, v102
	s_cbranch_execz .LBB3_110
; %bb.114:                              ;   in Loop: Header=BB3_112 Depth=2
	flat_load_b32 v103, v[51:52]
	s_xor_b32 s24, exec_lo, -1
	s_branch .LBB3_110
.LBB3_115:                              ;   in Loop: Header=BB3_65 Depth=1
	s_set_inst_prefetch_distance 0x2
	s_or_b32 exec_lo, exec_lo, s22
	v_mov_b32_e32 v98, v114
.LBB3_116:                              ;   in Loop: Header=BB3_65 Depth=1
	s_or_b32 exec_lo, exec_lo, s21
	s_delay_alu instid0(SALU_CYCLE_1)
	s_mov_b32 s4, exec_lo
	s_waitcnt vmcnt(0) lgkmcnt(0)
	v_cmpx_gt_f32_e32 v103, v112
	s_cbranch_execz .LBB3_118
; %bb.117:                              ;   in Loop: Header=BB3_65 Depth=1
	v_mov_b32_e32 v112, v103
	flat_store_b32 v[22:23], v103
.LBB3_118:                              ;   in Loop: Header=BB3_65 Depth=1
	s_or_b32 exec_lo, exec_lo, s4
	v_cmp_lt_f32_e32 vcc_lo, v112, v12
	v_dual_mov_b32 v103, v102 :: v_dual_cndmask_b32 v12, v12, v112
	v_cndmask_b32_e32 v97, v97, v102, vcc_lo
.LBB3_119:                              ;   in Loop: Header=BB3_65 Depth=1
	s_or_b32 exec_lo, exec_lo, s20
.LBB3_120:                              ;   in Loop: Header=BB3_65 Depth=1
	s_delay_alu instid0(SALU_CYCLE_1)
	s_or_b32 exec_lo, exec_lo, s19
.LBB3_121:                              ;   in Loop: Header=BB3_65 Depth=1
	s_delay_alu instid0(SALU_CYCLE_1)
	s_or_b32 exec_lo, exec_lo, s18
.LBB3_122:                              ;   in Loop: Header=BB3_65 Depth=1
	s_delay_alu instid0(SALU_CYCLE_1) | instskip(NEXT) | instid1(SALU_CYCLE_1)
	s_or_b32 exec_lo, exec_lo, s17
	s_mov_b32 s17, exec_lo
	v_cmpx_lt_i32_e32 -1, v101
	s_cbranch_execz .LBB3_300
; %bb.123:                              ;   in Loop: Header=BB3_65 Depth=1
	v_mov_b32_e32 v102, v0
	s_mov_b32 s18, exec_lo
	v_cmpx_ne_u32_e64 v101, v0
	s_cbranch_execz .LBB3_141
; %bb.124:                              ;   in Loop: Header=BB3_65 Depth=1
	flat_load_b32 v112, v[24:25]
	v_mov_b32_e32 v102, v0
	s_mov_b32 s19, exec_lo
	s_waitcnt vmcnt(0) lgkmcnt(0)
	v_cmpx_ngt_f32_e32 v112, v16
	s_cbranch_execz .LBB3_140
; %bb.125:                              ;   in Loop: Header=BB3_65 Depth=1
	v_add_co_u32 v51, vcc_lo, v1, v101
	v_add_co_ci_u32_e32 v52, vcc_lo, 0, v2, vcc_lo
	v_mov_b32_e32 v102, v0
	s_mov_b32 s20, exec_lo
	flat_load_u8 v51, v[51:52]
	s_waitcnt vmcnt(0) lgkmcnt(0)
	v_cmpx_eq_u16_e32 0, v51
	s_cbranch_execz .LBB3_139
; %bb.126:                              ;   in Loop: Header=BB3_65 Depth=1
	v_add_co_u32 v51, vcc_lo, v5, v101
	v_add_co_ci_u32_e32 v52, vcc_lo, 0, v6, vcc_lo
	v_mov_b32_e32 v102, v0
	s_mov_b32 s21, exec_lo
	flat_load_u8 v51, v[51:52]
	s_waitcnt vmcnt(0) lgkmcnt(0)
	v_cmpx_eq_u16_e32 0, v51
	s_cbranch_execz .LBB3_138
; %bb.127:                              ;   in Loop: Header=BB3_65 Depth=1
	v_mov_b32_e32 v102, v71
	s_mov_b32 s22, exec_lo
	v_cmpx_lt_i32_e64 v98, v13
	s_cbranch_execz .LBB3_135
; %bb.128:                              ;   in Loop: Header=BB3_65 Depth=1
	v_dual_mov_b32 v102, v71 :: v_dual_add_nc_u32 v51, v98, v50
	v_mov_b32_e32 v113, v98
	s_mov_b32 s23, 0
                                        ; implicit-def: $sgpr24
	s_delay_alu instid0(VALU_DEP_2) | instskip(NEXT) | instid1(VALU_DEP_1)
	v_ashrrev_i32_e32 v52, 31, v51
	v_lshlrev_b64 v[53:54], 2, v[51:52]
	s_delay_alu instid0(VALU_DEP_1) | instskip(NEXT) | instid1(VALU_DEP_2)
	v_add_co_u32 v51, vcc_lo, v3, v53
	v_add_co_ci_u32_e32 v52, vcc_lo, v4, v54, vcc_lo
	v_add_co_u32 v53, vcc_lo, v7, v53
	v_add_co_ci_u32_e32 v54, vcc_lo, v8, v54, vcc_lo
	s_set_inst_prefetch_distance 0x1
	s_branch .LBB3_131
	.p2align	6
.LBB3_129:                              ;   in Loop: Header=BB3_131 Depth=2
	s_or_b32 exec_lo, exec_lo, s26
	v_mov_b32_e32 v114, v113
	s_and_not1_b32 s24, s24, exec_lo
	s_and_b32 s25, s25, exec_lo
	s_delay_alu instid0(SALU_CYCLE_1)
	s_or_b32 s24, s24, s25
.LBB3_130:                              ;   in Loop: Header=BB3_131 Depth=2
	s_or_b32 exec_lo, exec_lo, s4
	v_dual_mov_b32 v113, v114 :: v_dual_add_nc_u32 v98, 1, v98
	v_add_co_u32 v51, s4, v51, 4
	s_xor_b32 s25, s24, -1
	s_delay_alu instid0(VALU_DEP_2)
	v_cmp_ge_i32_e32 vcc_lo, v98, v13
	v_add_co_ci_u32_e64 v52, s4, 0, v52, s4
	s_or_b32 s4, s25, vcc_lo
	v_add_co_u32 v53, vcc_lo, v53, 4
	v_add_co_ci_u32_e32 v54, vcc_lo, 0, v54, vcc_lo
	s_and_b32 s4, exec_lo, s4
	s_delay_alu instid0(SALU_CYCLE_1) | instskip(NEXT) | instid1(SALU_CYCLE_1)
	s_or_b32 s23, s4, s23
	s_and_not1_b32 exec_lo, exec_lo, s23
	s_cbranch_execz .LBB3_134
.LBB3_131:                              ;   Parent Loop BB3_65 Depth=1
                                        ; =>  This Inner Loop Header: Depth=2
	flat_load_b32 v115, v[53:54]
	v_mov_b32_e32 v114, v98
	s_and_not1_b32 s24, s24, exec_lo
	s_mov_b32 s4, exec_lo
	s_waitcnt vmcnt(0) lgkmcnt(0)
	v_cmpx_le_u32_e64 v115, v101
	s_cbranch_execz .LBB3_130
; %bb.132:                              ;   in Loop: Header=BB3_131 Depth=2
	s_mov_b32 s25, -1
	s_mov_b32 s26, exec_lo
	v_cmpx_eq_u32_e64 v115, v101
	s_cbranch_execz .LBB3_129
; %bb.133:                              ;   in Loop: Header=BB3_131 Depth=2
	flat_load_b32 v102, v[51:52]
	s_xor_b32 s25, exec_lo, -1
	s_branch .LBB3_129
.LBB3_134:                              ;   in Loop: Header=BB3_65 Depth=1
	s_set_inst_prefetch_distance 0x2
	s_or_b32 exec_lo, exec_lo, s23
	v_mov_b32_e32 v98, v114
.LBB3_135:                              ;   in Loop: Header=BB3_65 Depth=1
	s_or_b32 exec_lo, exec_lo, s22
	s_delay_alu instid0(SALU_CYCLE_1)
	s_mov_b32 s4, exec_lo
	s_waitcnt vmcnt(0) lgkmcnt(0)
	v_cmpx_gt_f32_e32 v102, v112
	s_cbranch_execz .LBB3_137
; %bb.136:                              ;   in Loop: Header=BB3_65 Depth=1
	v_mov_b32_e32 v112, v102
	flat_store_b32 v[24:25], v102
.LBB3_137:                              ;   in Loop: Header=BB3_65 Depth=1
	s_or_b32 exec_lo, exec_lo, s4
	v_cmp_lt_f32_e32 vcc_lo, v112, v12
	v_mov_b32_e32 v102, v101
	v_dual_cndmask_b32 v12, v12, v112 :: v_dual_cndmask_b32 v97, v97, v101
.LBB3_138:                              ;   in Loop: Header=BB3_65 Depth=1
	s_or_b32 exec_lo, exec_lo, s21
.LBB3_139:                              ;   in Loop: Header=BB3_65 Depth=1
	s_delay_alu instid0(SALU_CYCLE_1)
	s_or_b32 exec_lo, exec_lo, s20
.LBB3_140:                              ;   in Loop: Header=BB3_65 Depth=1
	s_delay_alu instid0(SALU_CYCLE_1)
	s_or_b32 exec_lo, exec_lo, s19
.LBB3_141:                              ;   in Loop: Header=BB3_65 Depth=1
	s_delay_alu instid0(SALU_CYCLE_1) | instskip(NEXT) | instid1(SALU_CYCLE_1)
	s_or_b32 exec_lo, exec_lo, s18
	s_mov_b32 s18, exec_lo
	v_cmpx_lt_i32_e32 -1, v100
	s_cbranch_execz .LBB3_299
; %bb.142:                              ;   in Loop: Header=BB3_65 Depth=1
	v_mov_b32_e32 v101, v0
	s_mov_b32 s19, exec_lo
	v_cmpx_ne_u32_e64 v100, v0
	s_cbranch_execz .LBB3_160
; %bb.143:                              ;   in Loop: Header=BB3_65 Depth=1
	flat_load_b32 v112, v[26:27]
	v_mov_b32_e32 v101, v0
	s_mov_b32 s20, exec_lo
	s_waitcnt vmcnt(0) lgkmcnt(0)
	v_cmpx_ngt_f32_e32 v112, v16
	s_cbranch_execz .LBB3_159
; %bb.144:                              ;   in Loop: Header=BB3_65 Depth=1
	v_add_co_u32 v51, vcc_lo, v1, v100
	v_add_co_ci_u32_e32 v52, vcc_lo, 0, v2, vcc_lo
	v_mov_b32_e32 v101, v0
	s_mov_b32 s21, exec_lo
	flat_load_u8 v51, v[51:52]
	s_waitcnt vmcnt(0) lgkmcnt(0)
	v_cmpx_eq_u16_e32 0, v51
	s_cbranch_execz .LBB3_158
; %bb.145:                              ;   in Loop: Header=BB3_65 Depth=1
	v_add_co_u32 v51, vcc_lo, v5, v100
	v_add_co_ci_u32_e32 v52, vcc_lo, 0, v6, vcc_lo
	v_mov_b32_e32 v101, v0
	s_mov_b32 s22, exec_lo
	flat_load_u8 v51, v[51:52]
	s_waitcnt vmcnt(0) lgkmcnt(0)
	v_cmpx_eq_u16_e32 0, v51
	s_cbranch_execz .LBB3_157
; %bb.146:                              ;   in Loop: Header=BB3_65 Depth=1
	v_mov_b32_e32 v101, v71
	s_mov_b32 s23, exec_lo
	v_cmpx_lt_i32_e64 v98, v13
	s_cbranch_execz .LBB3_154
; %bb.147:                              ;   in Loop: Header=BB3_65 Depth=1
	v_add_nc_u32_e32 v51, v98, v50
	v_mov_b32_e32 v113, v98
	v_mov_b32_e32 v101, v71
	s_mov_b32 s24, 0
                                        ; implicit-def: $sgpr25
	s_delay_alu instid0(VALU_DEP_3) | instskip(NEXT) | instid1(VALU_DEP_1)
	v_ashrrev_i32_e32 v52, 31, v51
	v_lshlrev_b64 v[53:54], 2, v[51:52]
	s_delay_alu instid0(VALU_DEP_1) | instskip(NEXT) | instid1(VALU_DEP_2)
	v_add_co_u32 v51, vcc_lo, v3, v53
	v_add_co_ci_u32_e32 v52, vcc_lo, v4, v54, vcc_lo
	v_add_co_u32 v53, vcc_lo, v7, v53
	v_add_co_ci_u32_e32 v54, vcc_lo, v8, v54, vcc_lo
	s_set_inst_prefetch_distance 0x1
	s_branch .LBB3_150
	.p2align	6
.LBB3_148:                              ;   in Loop: Header=BB3_150 Depth=2
	s_or_b32 exec_lo, exec_lo, s27
	v_mov_b32_e32 v114, v113
	s_and_not1_b32 s25, s25, exec_lo
	s_and_b32 s26, s26, exec_lo
	s_delay_alu instid0(SALU_CYCLE_1)
	s_or_b32 s25, s25, s26
.LBB3_149:                              ;   in Loop: Header=BB3_150 Depth=2
	s_or_b32 exec_lo, exec_lo, s4
	v_dual_mov_b32 v113, v114 :: v_dual_add_nc_u32 v98, 1, v98
	v_add_co_u32 v51, s4, v51, 4
	s_xor_b32 s26, s25, -1
	s_delay_alu instid0(VALU_DEP_2)
	v_cmp_ge_i32_e32 vcc_lo, v98, v13
	v_add_co_ci_u32_e64 v52, s4, 0, v52, s4
	s_or_b32 s4, s26, vcc_lo
	v_add_co_u32 v53, vcc_lo, v53, 4
	v_add_co_ci_u32_e32 v54, vcc_lo, 0, v54, vcc_lo
	s_and_b32 s4, exec_lo, s4
	s_delay_alu instid0(SALU_CYCLE_1) | instskip(NEXT) | instid1(SALU_CYCLE_1)
	s_or_b32 s24, s4, s24
	s_and_not1_b32 exec_lo, exec_lo, s24
	s_cbranch_execz .LBB3_153
.LBB3_150:                              ;   Parent Loop BB3_65 Depth=1
                                        ; =>  This Inner Loop Header: Depth=2
	flat_load_b32 v115, v[53:54]
	v_mov_b32_e32 v114, v98
	s_and_not1_b32 s25, s25, exec_lo
	s_mov_b32 s4, exec_lo
	s_waitcnt vmcnt(0) lgkmcnt(0)
	v_cmpx_le_u32_e64 v115, v100
	s_cbranch_execz .LBB3_149
; %bb.151:                              ;   in Loop: Header=BB3_150 Depth=2
	s_mov_b32 s26, -1
	s_mov_b32 s27, exec_lo
	v_cmpx_eq_u32_e64 v115, v100
	s_cbranch_execz .LBB3_148
; %bb.152:                              ;   in Loop: Header=BB3_150 Depth=2
	flat_load_b32 v101, v[51:52]
	s_xor_b32 s26, exec_lo, -1
	s_branch .LBB3_148
.LBB3_153:                              ;   in Loop: Header=BB3_65 Depth=1
	s_set_inst_prefetch_distance 0x2
	s_or_b32 exec_lo, exec_lo, s24
	v_mov_b32_e32 v98, v114
.LBB3_154:                              ;   in Loop: Header=BB3_65 Depth=1
	s_or_b32 exec_lo, exec_lo, s23
	s_delay_alu instid0(SALU_CYCLE_1)
	s_mov_b32 s4, exec_lo
	s_waitcnt vmcnt(0) lgkmcnt(0)
	v_cmpx_gt_f32_e32 v101, v112
	s_cbranch_execz .LBB3_156
; %bb.155:                              ;   in Loop: Header=BB3_65 Depth=1
	v_mov_b32_e32 v112, v101
	flat_store_b32 v[26:27], v101
.LBB3_156:                              ;   in Loop: Header=BB3_65 Depth=1
	s_or_b32 exec_lo, exec_lo, s4
	v_cmp_lt_f32_e32 vcc_lo, v112, v12
	v_mov_b32_e32 v101, v100
	v_cndmask_b32_e32 v12, v12, v112, vcc_lo
	v_cndmask_b32_e32 v97, v97, v100, vcc_lo
.LBB3_157:                              ;   in Loop: Header=BB3_65 Depth=1
	s_or_b32 exec_lo, exec_lo, s22
.LBB3_158:                              ;   in Loop: Header=BB3_65 Depth=1
	s_delay_alu instid0(SALU_CYCLE_1)
	s_or_b32 exec_lo, exec_lo, s21
.LBB3_159:                              ;   in Loop: Header=BB3_65 Depth=1
	s_delay_alu instid0(SALU_CYCLE_1)
	s_or_b32 exec_lo, exec_lo, s20
.LBB3_160:                              ;   in Loop: Header=BB3_65 Depth=1
	s_delay_alu instid0(SALU_CYCLE_1) | instskip(NEXT) | instid1(SALU_CYCLE_1)
	s_or_b32 exec_lo, exec_lo, s19
	s_mov_b32 s19, exec_lo
	v_cmpx_lt_i32_e32 -1, v99
	s_cbranch_execz .LBB3_298
; %bb.161:                              ;   in Loop: Header=BB3_65 Depth=1
	v_mov_b32_e32 v100, v0
	s_mov_b32 s20, exec_lo
	v_cmpx_ne_u32_e64 v99, v0
	s_cbranch_execz .LBB3_179
; %bb.162:                              ;   in Loop: Header=BB3_65 Depth=1
	flat_load_b32 v112, v[28:29]
	v_mov_b32_e32 v100, v0
	s_mov_b32 s21, exec_lo
	s_waitcnt vmcnt(0) lgkmcnt(0)
	v_cmpx_ngt_f32_e32 v112, v16
	s_cbranch_execz .LBB3_178
; %bb.163:                              ;   in Loop: Header=BB3_65 Depth=1
	v_add_co_u32 v51, vcc_lo, v1, v99
	v_add_co_ci_u32_e32 v52, vcc_lo, 0, v2, vcc_lo
	v_mov_b32_e32 v100, v0
	s_mov_b32 s22, exec_lo
	flat_load_u8 v51, v[51:52]
	s_waitcnt vmcnt(0) lgkmcnt(0)
	v_cmpx_eq_u16_e32 0, v51
	s_cbranch_execz .LBB3_177
; %bb.164:                              ;   in Loop: Header=BB3_65 Depth=1
	v_add_co_u32 v51, vcc_lo, v5, v99
	v_add_co_ci_u32_e32 v52, vcc_lo, 0, v6, vcc_lo
	v_mov_b32_e32 v100, v0
	s_mov_b32 s23, exec_lo
	flat_load_u8 v51, v[51:52]
	s_waitcnt vmcnt(0) lgkmcnt(0)
	v_cmpx_eq_u16_e32 0, v51
	s_cbranch_execz .LBB3_176
; %bb.165:                              ;   in Loop: Header=BB3_65 Depth=1
	v_mov_b32_e32 v100, v71
	s_mov_b32 s24, exec_lo
	v_cmpx_lt_i32_e64 v98, v13
	s_cbranch_execz .LBB3_173
; %bb.166:                              ;   in Loop: Header=BB3_65 Depth=1
	v_dual_mov_b32 v100, v71 :: v_dual_add_nc_u32 v51, v98, v50
	v_mov_b32_e32 v113, v98
	s_mov_b32 s25, 0
                                        ; implicit-def: $sgpr26
	s_delay_alu instid0(VALU_DEP_2) | instskip(NEXT) | instid1(VALU_DEP_1)
	v_ashrrev_i32_e32 v52, 31, v51
	v_lshlrev_b64 v[53:54], 2, v[51:52]
	s_delay_alu instid0(VALU_DEP_1) | instskip(NEXT) | instid1(VALU_DEP_2)
	v_add_co_u32 v51, vcc_lo, v3, v53
	v_add_co_ci_u32_e32 v52, vcc_lo, v4, v54, vcc_lo
	v_add_co_u32 v53, vcc_lo, v7, v53
	v_add_co_ci_u32_e32 v54, vcc_lo, v8, v54, vcc_lo
	s_set_inst_prefetch_distance 0x1
	s_branch .LBB3_169
.LBB3_167:                              ;   in Loop: Header=BB3_169 Depth=2
	s_or_b32 exec_lo, exec_lo, s28
	v_mov_b32_e32 v114, v113
	s_and_not1_b32 s26, s26, exec_lo
	s_and_b32 s27, s27, exec_lo
	s_delay_alu instid0(SALU_CYCLE_1)
	s_or_b32 s26, s26, s27
.LBB3_168:                              ;   in Loop: Header=BB3_169 Depth=2
	s_or_b32 exec_lo, exec_lo, s4
	v_dual_mov_b32 v113, v114 :: v_dual_add_nc_u32 v98, 1, v98
	v_add_co_u32 v51, s4, v51, 4
	s_xor_b32 s27, s26, -1
	s_delay_alu instid0(VALU_DEP_2)
	v_cmp_ge_i32_e32 vcc_lo, v98, v13
	v_add_co_ci_u32_e64 v52, s4, 0, v52, s4
	s_or_b32 s4, s27, vcc_lo
	v_add_co_u32 v53, vcc_lo, v53, 4
	v_add_co_ci_u32_e32 v54, vcc_lo, 0, v54, vcc_lo
	s_and_b32 s4, exec_lo, s4
	s_delay_alu instid0(SALU_CYCLE_1) | instskip(NEXT) | instid1(SALU_CYCLE_1)
	s_or_b32 s25, s4, s25
	s_and_not1_b32 exec_lo, exec_lo, s25
	s_cbranch_execz .LBB3_172
.LBB3_169:                              ;   Parent Loop BB3_65 Depth=1
                                        ; =>  This Inner Loop Header: Depth=2
	flat_load_b32 v115, v[53:54]
	v_mov_b32_e32 v114, v98
	s_and_not1_b32 s26, s26, exec_lo
	s_mov_b32 s4, exec_lo
	s_waitcnt vmcnt(0) lgkmcnt(0)
	v_cmpx_le_u32_e64 v115, v99
	s_cbranch_execz .LBB3_168
; %bb.170:                              ;   in Loop: Header=BB3_169 Depth=2
	s_mov_b32 s27, -1
	s_mov_b32 s28, exec_lo
	v_cmpx_eq_u32_e64 v115, v99
	s_cbranch_execz .LBB3_167
; %bb.171:                              ;   in Loop: Header=BB3_169 Depth=2
	flat_load_b32 v100, v[51:52]
	s_xor_b32 s27, exec_lo, -1
	s_branch .LBB3_167
.LBB3_172:                              ;   in Loop: Header=BB3_65 Depth=1
	s_set_inst_prefetch_distance 0x2
	s_or_b32 exec_lo, exec_lo, s25
	v_mov_b32_e32 v98, v114
.LBB3_173:                              ;   in Loop: Header=BB3_65 Depth=1
	s_or_b32 exec_lo, exec_lo, s24
	s_delay_alu instid0(SALU_CYCLE_1)
	s_mov_b32 s4, exec_lo
	s_waitcnt vmcnt(0) lgkmcnt(0)
	v_cmpx_gt_f32_e32 v100, v112
	s_cbranch_execz .LBB3_175
; %bb.174:                              ;   in Loop: Header=BB3_65 Depth=1
	v_mov_b32_e32 v112, v100
	flat_store_b32 v[28:29], v100
.LBB3_175:                              ;   in Loop: Header=BB3_65 Depth=1
	s_or_b32 exec_lo, exec_lo, s4
	v_cmp_lt_f32_e32 vcc_lo, v112, v12
	v_mov_b32_e32 v100, v99
	v_dual_cndmask_b32 v12, v12, v112 :: v_dual_cndmask_b32 v97, v97, v99
.LBB3_176:                              ;   in Loop: Header=BB3_65 Depth=1
	s_or_b32 exec_lo, exec_lo, s23
.LBB3_177:                              ;   in Loop: Header=BB3_65 Depth=1
	s_delay_alu instid0(SALU_CYCLE_1)
	s_or_b32 exec_lo, exec_lo, s22
.LBB3_178:                              ;   in Loop: Header=BB3_65 Depth=1
	s_delay_alu instid0(SALU_CYCLE_1)
	s_or_b32 exec_lo, exec_lo, s21
.LBB3_179:                              ;   in Loop: Header=BB3_65 Depth=1
	s_delay_alu instid0(SALU_CYCLE_1) | instskip(NEXT) | instid1(SALU_CYCLE_1)
	s_or_b32 exec_lo, exec_lo, s20
	s_mov_b32 s20, exec_lo
	v_cmpx_lt_i32_e32 -1, v96
	s_cbranch_execz .LBB3_297
; %bb.180:                              ;   in Loop: Header=BB3_65 Depth=1
	v_mov_b32_e32 v99, v0
	s_mov_b32 s21, exec_lo
	v_cmpx_ne_u32_e64 v96, v0
	s_cbranch_execz .LBB3_198
; %bb.181:                              ;   in Loop: Header=BB3_65 Depth=1
	flat_load_b32 v112, v[30:31]
	v_mov_b32_e32 v99, v0
	s_mov_b32 s22, exec_lo
	s_waitcnt vmcnt(0) lgkmcnt(0)
	v_cmpx_ngt_f32_e32 v112, v16
	s_cbranch_execz .LBB3_197
; %bb.182:                              ;   in Loop: Header=BB3_65 Depth=1
	v_add_co_u32 v51, vcc_lo, v1, v96
	v_add_co_ci_u32_e32 v52, vcc_lo, 0, v2, vcc_lo
	v_mov_b32_e32 v99, v0
	s_mov_b32 s23, exec_lo
	flat_load_u8 v51, v[51:52]
	s_waitcnt vmcnt(0) lgkmcnt(0)
	v_cmpx_eq_u16_e32 0, v51
	s_cbranch_execz .LBB3_196
; %bb.183:                              ;   in Loop: Header=BB3_65 Depth=1
	v_add_co_u32 v51, vcc_lo, v5, v96
	v_add_co_ci_u32_e32 v52, vcc_lo, 0, v6, vcc_lo
	v_mov_b32_e32 v99, v0
	s_mov_b32 s24, exec_lo
	flat_load_u8 v51, v[51:52]
	s_waitcnt vmcnt(0) lgkmcnt(0)
	v_cmpx_eq_u16_e32 0, v51
	s_cbranch_execz .LBB3_195
; %bb.184:                              ;   in Loop: Header=BB3_65 Depth=1
	v_mov_b32_e32 v99, v71
	s_mov_b32 s25, exec_lo
	v_cmpx_lt_i32_e64 v98, v13
	s_cbranch_execz .LBB3_192
; %bb.185:                              ;   in Loop: Header=BB3_65 Depth=1
	v_add_nc_u32_e32 v51, v98, v50
	v_mov_b32_e32 v113, v98
	v_mov_b32_e32 v99, v71
	s_mov_b32 s26, 0
                                        ; implicit-def: $sgpr27
	s_delay_alu instid0(VALU_DEP_3) | instskip(NEXT) | instid1(VALU_DEP_1)
	v_ashrrev_i32_e32 v52, 31, v51
	v_lshlrev_b64 v[53:54], 2, v[51:52]
	s_delay_alu instid0(VALU_DEP_1) | instskip(NEXT) | instid1(VALU_DEP_2)
	v_add_co_u32 v51, vcc_lo, v3, v53
	v_add_co_ci_u32_e32 v52, vcc_lo, v4, v54, vcc_lo
	v_add_co_u32 v53, vcc_lo, v7, v53
	v_add_co_ci_u32_e32 v54, vcc_lo, v8, v54, vcc_lo
	s_set_inst_prefetch_distance 0x1
	s_branch .LBB3_188
.LBB3_186:                              ;   in Loop: Header=BB3_188 Depth=2
	s_or_b32 exec_lo, exec_lo, s29
	v_mov_b32_e32 v114, v113
	s_and_not1_b32 s27, s27, exec_lo
	s_and_b32 s28, s28, exec_lo
	s_delay_alu instid0(SALU_CYCLE_1)
	s_or_b32 s27, s27, s28
.LBB3_187:                              ;   in Loop: Header=BB3_188 Depth=2
	s_or_b32 exec_lo, exec_lo, s4
	v_dual_mov_b32 v113, v114 :: v_dual_add_nc_u32 v98, 1, v98
	v_add_co_u32 v51, s4, v51, 4
	s_xor_b32 s28, s27, -1
	s_delay_alu instid0(VALU_DEP_2)
	v_cmp_ge_i32_e32 vcc_lo, v98, v13
	v_add_co_ci_u32_e64 v52, s4, 0, v52, s4
	s_or_b32 s4, s28, vcc_lo
	v_add_co_u32 v53, vcc_lo, v53, 4
	v_add_co_ci_u32_e32 v54, vcc_lo, 0, v54, vcc_lo
	s_and_b32 s4, exec_lo, s4
	s_delay_alu instid0(SALU_CYCLE_1) | instskip(NEXT) | instid1(SALU_CYCLE_1)
	s_or_b32 s26, s4, s26
	s_and_not1_b32 exec_lo, exec_lo, s26
	s_cbranch_execz .LBB3_191
.LBB3_188:                              ;   Parent Loop BB3_65 Depth=1
                                        ; =>  This Inner Loop Header: Depth=2
	flat_load_b32 v115, v[53:54]
	v_mov_b32_e32 v114, v98
	s_and_not1_b32 s27, s27, exec_lo
	s_mov_b32 s4, exec_lo
	s_waitcnt vmcnt(0) lgkmcnt(0)
	v_cmpx_le_u32_e64 v115, v96
	s_cbranch_execz .LBB3_187
; %bb.189:                              ;   in Loop: Header=BB3_188 Depth=2
	s_mov_b32 s28, -1
	s_mov_b32 s29, exec_lo
	v_cmpx_eq_u32_e64 v115, v96
	s_cbranch_execz .LBB3_186
; %bb.190:                              ;   in Loop: Header=BB3_188 Depth=2
	flat_load_b32 v99, v[51:52]
	s_xor_b32 s28, exec_lo, -1
	s_branch .LBB3_186
.LBB3_191:                              ;   in Loop: Header=BB3_65 Depth=1
	s_set_inst_prefetch_distance 0x2
	s_or_b32 exec_lo, exec_lo, s26
	v_mov_b32_e32 v98, v114
.LBB3_192:                              ;   in Loop: Header=BB3_65 Depth=1
	s_or_b32 exec_lo, exec_lo, s25
	s_delay_alu instid0(SALU_CYCLE_1)
	s_mov_b32 s4, exec_lo
	s_waitcnt vmcnt(0) lgkmcnt(0)
	v_cmpx_gt_f32_e32 v99, v112
	s_cbranch_execz .LBB3_194
; %bb.193:                              ;   in Loop: Header=BB3_65 Depth=1
	v_mov_b32_e32 v112, v99
	flat_store_b32 v[30:31], v99
.LBB3_194:                              ;   in Loop: Header=BB3_65 Depth=1
	s_or_b32 exec_lo, exec_lo, s4
	v_cmp_lt_f32_e32 vcc_lo, v112, v12
	v_mov_b32_e32 v99, v96
	v_cndmask_b32_e32 v12, v12, v112, vcc_lo
	v_cndmask_b32_e32 v97, v97, v96, vcc_lo
.LBB3_195:                              ;   in Loop: Header=BB3_65 Depth=1
	s_or_b32 exec_lo, exec_lo, s24
.LBB3_196:                              ;   in Loop: Header=BB3_65 Depth=1
	s_delay_alu instid0(SALU_CYCLE_1)
	s_or_b32 exec_lo, exec_lo, s23
.LBB3_197:                              ;   in Loop: Header=BB3_65 Depth=1
	s_delay_alu instid0(SALU_CYCLE_1)
	s_or_b32 exec_lo, exec_lo, s22
.LBB3_198:                              ;   in Loop: Header=BB3_65 Depth=1
	s_delay_alu instid0(SALU_CYCLE_1) | instskip(NEXT) | instid1(SALU_CYCLE_1)
	s_or_b32 exec_lo, exec_lo, s21
	s_mov_b32 s21, exec_lo
	v_cmpx_lt_i32_e32 -1, v87
	s_cbranch_execz .LBB3_296
; %bb.199:                              ;   in Loop: Header=BB3_65 Depth=1
	v_mov_b32_e32 v96, v0
	s_mov_b32 s22, exec_lo
	v_cmpx_ne_u32_e64 v87, v0
	s_cbranch_execz .LBB3_217
; %bb.200:                              ;   in Loop: Header=BB3_65 Depth=1
	flat_load_b32 v112, v[32:33]
	v_mov_b32_e32 v96, v0
	s_mov_b32 s23, exec_lo
	s_waitcnt vmcnt(0) lgkmcnt(0)
	v_cmpx_ngt_f32_e32 v112, v16
	s_cbranch_execz .LBB3_216
; %bb.201:                              ;   in Loop: Header=BB3_65 Depth=1
	v_add_co_u32 v51, vcc_lo, v1, v87
	v_add_co_ci_u32_e32 v52, vcc_lo, 0, v2, vcc_lo
	v_mov_b32_e32 v96, v0
	s_mov_b32 s24, exec_lo
	flat_load_u8 v51, v[51:52]
	s_waitcnt vmcnt(0) lgkmcnt(0)
	v_cmpx_eq_u16_e32 0, v51
	s_cbranch_execz .LBB3_215
; %bb.202:                              ;   in Loop: Header=BB3_65 Depth=1
	v_add_co_u32 v51, vcc_lo, v5, v87
	v_add_co_ci_u32_e32 v52, vcc_lo, 0, v6, vcc_lo
	v_mov_b32_e32 v96, v0
	s_mov_b32 s25, exec_lo
	flat_load_u8 v51, v[51:52]
	s_waitcnt vmcnt(0) lgkmcnt(0)
	v_cmpx_eq_u16_e32 0, v51
	s_cbranch_execz .LBB3_214
; %bb.203:                              ;   in Loop: Header=BB3_65 Depth=1
	v_mov_b32_e32 v96, v71
	s_mov_b32 s26, exec_lo
	v_cmpx_lt_i32_e64 v98, v13
	s_cbranch_execz .LBB3_211
; %bb.204:                              ;   in Loop: Header=BB3_65 Depth=1
	v_dual_mov_b32 v96, v71 :: v_dual_add_nc_u32 v51, v98, v50
	v_mov_b32_e32 v113, v98
	s_mov_b32 s27, 0
                                        ; implicit-def: $sgpr28
	s_delay_alu instid0(VALU_DEP_2) | instskip(NEXT) | instid1(VALU_DEP_1)
	v_ashrrev_i32_e32 v52, 31, v51
	v_lshlrev_b64 v[53:54], 2, v[51:52]
	s_delay_alu instid0(VALU_DEP_1) | instskip(NEXT) | instid1(VALU_DEP_2)
	v_add_co_u32 v51, vcc_lo, v3, v53
	v_add_co_ci_u32_e32 v52, vcc_lo, v4, v54, vcc_lo
	v_add_co_u32 v53, vcc_lo, v7, v53
	v_add_co_ci_u32_e32 v54, vcc_lo, v8, v54, vcc_lo
	s_set_inst_prefetch_distance 0x1
	s_branch .LBB3_207
.LBB3_205:                              ;   in Loop: Header=BB3_207 Depth=2
	s_or_b32 exec_lo, exec_lo, vcc_hi
	v_mov_b32_e32 v114, v113
	s_and_not1_b32 s28, s28, exec_lo
	s_and_b32 s29, s29, exec_lo
	s_delay_alu instid0(SALU_CYCLE_1)
	s_or_b32 s28, s28, s29
.LBB3_206:                              ;   in Loop: Header=BB3_207 Depth=2
	s_or_b32 exec_lo, exec_lo, s4
	v_dual_mov_b32 v113, v114 :: v_dual_add_nc_u32 v98, 1, v98
	v_add_co_u32 v51, s4, v51, 4
	s_xor_b32 s29, s28, -1
	s_delay_alu instid0(VALU_DEP_2)
	v_cmp_ge_i32_e32 vcc_lo, v98, v13
	v_add_co_ci_u32_e64 v52, s4, 0, v52, s4
	s_or_b32 s4, s29, vcc_lo
	v_add_co_u32 v53, vcc_lo, v53, 4
	v_add_co_ci_u32_e32 v54, vcc_lo, 0, v54, vcc_lo
	s_and_b32 s4, exec_lo, s4
	s_delay_alu instid0(SALU_CYCLE_1) | instskip(NEXT) | instid1(SALU_CYCLE_1)
	s_or_b32 s27, s4, s27
	s_and_not1_b32 exec_lo, exec_lo, s27
	s_cbranch_execz .LBB3_210
.LBB3_207:                              ;   Parent Loop BB3_65 Depth=1
                                        ; =>  This Inner Loop Header: Depth=2
	flat_load_b32 v115, v[53:54]
	v_mov_b32_e32 v114, v98
	s_and_not1_b32 s28, s28, exec_lo
	s_mov_b32 s4, exec_lo
	s_waitcnt vmcnt(0) lgkmcnt(0)
	v_cmpx_le_u32_e64 v115, v87
	s_cbranch_execz .LBB3_206
; %bb.208:                              ;   in Loop: Header=BB3_207 Depth=2
	s_mov_b32 s29, -1
	s_mov_b32 vcc_hi, exec_lo
	v_cmpx_eq_u32_e64 v115, v87
	s_cbranch_execz .LBB3_205
; %bb.209:                              ;   in Loop: Header=BB3_207 Depth=2
	flat_load_b32 v96, v[51:52]
	s_xor_b32 s29, exec_lo, -1
	s_branch .LBB3_205
.LBB3_210:                              ;   in Loop: Header=BB3_65 Depth=1
	s_set_inst_prefetch_distance 0x2
	s_or_b32 exec_lo, exec_lo, s27
	v_mov_b32_e32 v98, v114
.LBB3_211:                              ;   in Loop: Header=BB3_65 Depth=1
	s_or_b32 exec_lo, exec_lo, s26
	s_delay_alu instid0(SALU_CYCLE_1)
	s_mov_b32 s4, exec_lo
	s_waitcnt vmcnt(0) lgkmcnt(0)
	v_cmpx_gt_f32_e32 v96, v112
	s_cbranch_execz .LBB3_213
; %bb.212:                              ;   in Loop: Header=BB3_65 Depth=1
	v_mov_b32_e32 v112, v96
	flat_store_b32 v[32:33], v96
.LBB3_213:                              ;   in Loop: Header=BB3_65 Depth=1
	s_or_b32 exec_lo, exec_lo, s4
	v_cmp_lt_f32_e32 vcc_lo, v112, v12
	v_mov_b32_e32 v96, v87
	v_dual_cndmask_b32 v12, v12, v112 :: v_dual_cndmask_b32 v97, v97, v87
.LBB3_214:                              ;   in Loop: Header=BB3_65 Depth=1
	s_or_b32 exec_lo, exec_lo, s25
.LBB3_215:                              ;   in Loop: Header=BB3_65 Depth=1
	s_delay_alu instid0(SALU_CYCLE_1)
	s_or_b32 exec_lo, exec_lo, s24
.LBB3_216:                              ;   in Loop: Header=BB3_65 Depth=1
	s_delay_alu instid0(SALU_CYCLE_1)
	s_or_b32 exec_lo, exec_lo, s23
.LBB3_217:                              ;   in Loop: Header=BB3_65 Depth=1
	s_delay_alu instid0(SALU_CYCLE_1) | instskip(NEXT) | instid1(SALU_CYCLE_1)
	s_or_b32 exec_lo, exec_lo, s22
	s_mov_b32 s22, exec_lo
	v_cmpx_lt_i32_e32 -1, v86
	s_cbranch_execz .LBB3_295
; %bb.218:                              ;   in Loop: Header=BB3_65 Depth=1
	v_mov_b32_e32 v87, v0
	s_mov_b32 s23, exec_lo
	v_cmpx_ne_u32_e64 v86, v0
	s_cbranch_execz .LBB3_236
; %bb.219:                              ;   in Loop: Header=BB3_65 Depth=1
	flat_load_b32 v112, v[34:35]
	v_mov_b32_e32 v87, v0
	s_mov_b32 s24, exec_lo
	s_waitcnt vmcnt(0) lgkmcnt(0)
	v_cmpx_ngt_f32_e32 v112, v16
	s_cbranch_execz .LBB3_235
; %bb.220:                              ;   in Loop: Header=BB3_65 Depth=1
	v_add_co_u32 v51, vcc_lo, v1, v86
	v_add_co_ci_u32_e32 v52, vcc_lo, 0, v2, vcc_lo
	v_mov_b32_e32 v87, v0
	s_mov_b32 s25, exec_lo
	flat_load_u8 v51, v[51:52]
	s_waitcnt vmcnt(0) lgkmcnt(0)
	v_cmpx_eq_u16_e32 0, v51
	s_cbranch_execz .LBB3_234
; %bb.221:                              ;   in Loop: Header=BB3_65 Depth=1
	v_add_co_u32 v51, vcc_lo, v5, v86
	v_add_co_ci_u32_e32 v52, vcc_lo, 0, v6, vcc_lo
	v_mov_b32_e32 v87, v0
	s_mov_b32 s26, exec_lo
	flat_load_u8 v51, v[51:52]
	s_waitcnt vmcnt(0) lgkmcnt(0)
	v_cmpx_eq_u16_e32 0, v51
	s_cbranch_execz .LBB3_233
; %bb.222:                              ;   in Loop: Header=BB3_65 Depth=1
	v_mov_b32_e32 v87, v71
	s_mov_b32 s27, exec_lo
	v_cmpx_lt_i32_e64 v98, v13
	s_cbranch_execz .LBB3_230
; %bb.223:                              ;   in Loop: Header=BB3_65 Depth=1
	v_add_nc_u32_e32 v51, v98, v50
	v_mov_b32_e32 v113, v98
	v_mov_b32_e32 v87, v71
	s_mov_b32 s28, 0
                                        ; implicit-def: $sgpr29
	s_delay_alu instid0(VALU_DEP_3) | instskip(NEXT) | instid1(VALU_DEP_1)
	v_ashrrev_i32_e32 v52, 31, v51
	v_lshlrev_b64 v[53:54], 2, v[51:52]
	s_delay_alu instid0(VALU_DEP_1) | instskip(NEXT) | instid1(VALU_DEP_2)
	v_add_co_u32 v51, vcc_lo, v3, v53
	v_add_co_ci_u32_e32 v52, vcc_lo, v4, v54, vcc_lo
	v_add_co_u32 v53, vcc_lo, v7, v53
	v_add_co_ci_u32_e32 v54, vcc_lo, v8, v54, vcc_lo
	s_set_inst_prefetch_distance 0x1
	s_branch .LBB3_226
.LBB3_224:                              ;   in Loop: Header=BB3_226 Depth=2
	s_or_b32 exec_lo, exec_lo, s30
	v_mov_b32_e32 v114, v113
	s_and_not1_b32 s29, s29, exec_lo
	s_and_b32 vcc_lo, vcc_hi, exec_lo
	s_delay_alu instid0(SALU_CYCLE_1)
	s_or_b32 s29, s29, vcc_lo
.LBB3_225:                              ;   in Loop: Header=BB3_226 Depth=2
	s_or_b32 exec_lo, exec_lo, s4
	v_dual_mov_b32 v113, v114 :: v_dual_add_nc_u32 v98, 1, v98
	s_xor_b32 vcc_hi, s29, -1
	v_add_co_u32 v51, s4, v51, 4
	s_delay_alu instid0(VALU_DEP_2)
	v_cmp_ge_i32_e32 vcc_lo, v98, v13
	v_add_co_ci_u32_e64 v52, s4, 0, v52, s4
	s_or_b32 s4, vcc_hi, vcc_lo
	v_add_co_u32 v53, vcc_lo, v53, 4
	v_add_co_ci_u32_e32 v54, vcc_lo, 0, v54, vcc_lo
	s_and_b32 s4, exec_lo, s4
	s_delay_alu instid0(SALU_CYCLE_1) | instskip(NEXT) | instid1(SALU_CYCLE_1)
	s_or_b32 s28, s4, s28
	s_and_not1_b32 exec_lo, exec_lo, s28
	s_cbranch_execz .LBB3_229
.LBB3_226:                              ;   Parent Loop BB3_65 Depth=1
                                        ; =>  This Inner Loop Header: Depth=2
	flat_load_b32 v115, v[53:54]
	v_mov_b32_e32 v114, v98
	s_and_not1_b32 s29, s29, exec_lo
	s_mov_b32 s4, exec_lo
	s_waitcnt vmcnt(0) lgkmcnt(0)
	v_cmpx_le_u32_e64 v115, v86
	s_cbranch_execz .LBB3_225
; %bb.227:                              ;   in Loop: Header=BB3_226 Depth=2
	s_mov_b32 vcc_hi, -1
	s_mov_b32 s30, exec_lo
	v_cmpx_eq_u32_e64 v115, v86
	s_cbranch_execz .LBB3_224
; %bb.228:                              ;   in Loop: Header=BB3_226 Depth=2
	flat_load_b32 v87, v[51:52]
	s_xor_b32 vcc_hi, exec_lo, -1
	s_branch .LBB3_224
.LBB3_229:                              ;   in Loop: Header=BB3_65 Depth=1
	s_set_inst_prefetch_distance 0x2
	s_or_b32 exec_lo, exec_lo, s28
	v_mov_b32_e32 v98, v114
.LBB3_230:                              ;   in Loop: Header=BB3_65 Depth=1
	s_or_b32 exec_lo, exec_lo, s27
	s_delay_alu instid0(SALU_CYCLE_1)
	s_mov_b32 s4, exec_lo
	s_waitcnt vmcnt(0) lgkmcnt(0)
	v_cmpx_gt_f32_e32 v87, v112
	s_cbranch_execz .LBB3_232
; %bb.231:                              ;   in Loop: Header=BB3_65 Depth=1
	v_mov_b32_e32 v112, v87
	flat_store_b32 v[34:35], v87
.LBB3_232:                              ;   in Loop: Header=BB3_65 Depth=1
	s_or_b32 exec_lo, exec_lo, s4
	v_cmp_lt_f32_e32 vcc_lo, v112, v12
	v_dual_mov_b32 v87, v86 :: v_dual_cndmask_b32 v12, v12, v112
	v_cndmask_b32_e32 v97, v97, v86, vcc_lo
.LBB3_233:                              ;   in Loop: Header=BB3_65 Depth=1
	s_or_b32 exec_lo, exec_lo, s26
.LBB3_234:                              ;   in Loop: Header=BB3_65 Depth=1
	s_delay_alu instid0(SALU_CYCLE_1)
	s_or_b32 exec_lo, exec_lo, s25
.LBB3_235:                              ;   in Loop: Header=BB3_65 Depth=1
	s_delay_alu instid0(SALU_CYCLE_1)
	s_or_b32 exec_lo, exec_lo, s24
.LBB3_236:                              ;   in Loop: Header=BB3_65 Depth=1
	s_delay_alu instid0(SALU_CYCLE_1) | instskip(NEXT) | instid1(SALU_CYCLE_1)
	s_or_b32 exec_lo, exec_lo, s23
	s_mov_b32 s23, exec_lo
	v_cmpx_lt_i32_e32 -1, v84
	s_cbranch_execz .LBB3_294
; %bb.237:                              ;   in Loop: Header=BB3_65 Depth=1
	v_mov_b32_e32 v86, v0
	s_mov_b32 s24, exec_lo
	v_cmpx_ne_u32_e64 v84, v0
	s_cbranch_execz .LBB3_255
; %bb.238:                              ;   in Loop: Header=BB3_65 Depth=1
	flat_load_b32 v112, v[36:37]
	v_mov_b32_e32 v86, v0
	s_mov_b32 s25, exec_lo
	s_waitcnt vmcnt(0) lgkmcnt(0)
	v_cmpx_ngt_f32_e32 v112, v16
	s_cbranch_execz .LBB3_254
; %bb.239:                              ;   in Loop: Header=BB3_65 Depth=1
	v_add_co_u32 v51, vcc_lo, v1, v84
	v_add_co_ci_u32_e32 v52, vcc_lo, 0, v2, vcc_lo
	v_mov_b32_e32 v86, v0
	s_mov_b32 s26, exec_lo
	flat_load_u8 v51, v[51:52]
	s_waitcnt vmcnt(0) lgkmcnt(0)
	v_cmpx_eq_u16_e32 0, v51
	s_cbranch_execz .LBB3_253
; %bb.240:                              ;   in Loop: Header=BB3_65 Depth=1
	v_add_co_u32 v51, vcc_lo, v5, v84
	v_add_co_ci_u32_e32 v52, vcc_lo, 0, v6, vcc_lo
	v_mov_b32_e32 v86, v0
	s_mov_b32 s27, exec_lo
	flat_load_u8 v51, v[51:52]
	s_waitcnt vmcnt(0) lgkmcnt(0)
	v_cmpx_eq_u16_e32 0, v51
	s_cbranch_execz .LBB3_252
; %bb.241:                              ;   in Loop: Header=BB3_65 Depth=1
	v_mov_b32_e32 v86, v71
	s_mov_b32 s28, exec_lo
	v_cmpx_lt_i32_e64 v98, v13
	s_cbranch_execz .LBB3_249
; %bb.242:                              ;   in Loop: Header=BB3_65 Depth=1
	v_dual_mov_b32 v86, v71 :: v_dual_add_nc_u32 v51, v98, v50
	v_mov_b32_e32 v113, v98
	s_mov_b32 s29, 0
                                        ; implicit-def: $vcc_hi
	s_delay_alu instid0(VALU_DEP_2) | instskip(NEXT) | instid1(VALU_DEP_1)
	v_ashrrev_i32_e32 v52, 31, v51
	v_lshlrev_b64 v[53:54], 2, v[51:52]
	s_delay_alu instid0(VALU_DEP_1) | instskip(NEXT) | instid1(VALU_DEP_2)
	v_add_co_u32 v51, vcc_lo, v3, v53
	v_add_co_ci_u32_e32 v52, vcc_lo, v4, v54, vcc_lo
	v_add_co_u32 v53, vcc_lo, v7, v53
	v_add_co_ci_u32_e32 v54, vcc_lo, v8, v54, vcc_lo
	s_set_inst_prefetch_distance 0x1
	s_branch .LBB3_245
.LBB3_243:                              ;   in Loop: Header=BB3_245 Depth=2
	s_or_b32 exec_lo, exec_lo, s31
	v_mov_b32_e32 v114, v113
	s_and_not1_b32 vcc_lo, vcc_hi, exec_lo
	s_and_b32 vcc_hi, s30, exec_lo
	s_delay_alu instid0(SALU_CYCLE_1)
	s_or_b32 vcc_hi, vcc_lo, vcc_hi
.LBB3_244:                              ;   in Loop: Header=BB3_245 Depth=2
	s_or_b32 exec_lo, exec_lo, s4
	v_dual_mov_b32 v113, v114 :: v_dual_add_nc_u32 v98, 1, v98
	s_xor_b32 s30, vcc_hi, -1
	v_add_co_u32 v51, s4, v51, 4
	s_delay_alu instid0(VALU_DEP_2)
	v_cmp_ge_i32_e32 vcc_lo, v98, v13
	v_add_co_ci_u32_e64 v52, s4, 0, v52, s4
	s_or_b32 s4, s30, vcc_lo
	v_add_co_u32 v53, vcc_lo, v53, 4
	v_add_co_ci_u32_e32 v54, vcc_lo, 0, v54, vcc_lo
	s_and_b32 s4, exec_lo, s4
	s_delay_alu instid0(SALU_CYCLE_1) | instskip(NEXT) | instid1(SALU_CYCLE_1)
	s_or_b32 s29, s4, s29
	s_and_not1_b32 exec_lo, exec_lo, s29
	s_cbranch_execz .LBB3_248
.LBB3_245:                              ;   Parent Loop BB3_65 Depth=1
                                        ; =>  This Inner Loop Header: Depth=2
	flat_load_b32 v115, v[53:54]
	v_mov_b32_e32 v114, v98
	s_and_not1_b32 vcc_hi, vcc_hi, exec_lo
	s_mov_b32 s4, exec_lo
	s_waitcnt vmcnt(0) lgkmcnt(0)
	v_cmpx_le_u32_e64 v115, v84
	s_cbranch_execz .LBB3_244
; %bb.246:                              ;   in Loop: Header=BB3_245 Depth=2
	s_mov_b32 s30, -1
	s_mov_b32 s31, exec_lo
	v_cmpx_eq_u32_e64 v115, v84
	s_cbranch_execz .LBB3_243
; %bb.247:                              ;   in Loop: Header=BB3_245 Depth=2
	flat_load_b32 v86, v[51:52]
	s_xor_b32 s30, exec_lo, -1
	s_branch .LBB3_243
.LBB3_248:                              ;   in Loop: Header=BB3_65 Depth=1
	s_set_inst_prefetch_distance 0x2
	s_or_b32 exec_lo, exec_lo, s29
	v_mov_b32_e32 v98, v114
.LBB3_249:                              ;   in Loop: Header=BB3_65 Depth=1
	s_or_b32 exec_lo, exec_lo, s28
	s_delay_alu instid0(SALU_CYCLE_1)
	s_mov_b32 s4, exec_lo
	s_waitcnt vmcnt(0) lgkmcnt(0)
	v_cmpx_gt_f32_e32 v86, v112
	s_cbranch_execz .LBB3_251
; %bb.250:                              ;   in Loop: Header=BB3_65 Depth=1
	v_mov_b32_e32 v112, v86
	flat_store_b32 v[36:37], v86
.LBB3_251:                              ;   in Loop: Header=BB3_65 Depth=1
	s_or_b32 exec_lo, exec_lo, s4
	v_cmp_lt_f32_e32 vcc_lo, v112, v12
	v_mov_b32_e32 v86, v84
	v_cndmask_b32_e32 v12, v12, v112, vcc_lo
	v_cndmask_b32_e32 v97, v97, v84, vcc_lo
.LBB3_252:                              ;   in Loop: Header=BB3_65 Depth=1
	s_or_b32 exec_lo, exec_lo, s27
.LBB3_253:                              ;   in Loop: Header=BB3_65 Depth=1
	s_delay_alu instid0(SALU_CYCLE_1)
	s_or_b32 exec_lo, exec_lo, s26
.LBB3_254:                              ;   in Loop: Header=BB3_65 Depth=1
	s_delay_alu instid0(SALU_CYCLE_1)
	s_or_b32 exec_lo, exec_lo, s25
.LBB3_255:                              ;   in Loop: Header=BB3_65 Depth=1
	s_delay_alu instid0(SALU_CYCLE_1) | instskip(NEXT) | instid1(SALU_CYCLE_1)
	s_or_b32 exec_lo, exec_lo, s24
	s_mov_b32 s24, exec_lo
	v_cmpx_lt_i32_e32 -1, v68
	s_cbranch_execz .LBB3_293
; %bb.256:                              ;   in Loop: Header=BB3_65 Depth=1
	v_mov_b32_e32 v84, v0
	s_mov_b32 s25, exec_lo
	v_cmpx_ne_u32_e64 v68, v0
	s_cbranch_execz .LBB3_274
; %bb.257:                              ;   in Loop: Header=BB3_65 Depth=1
	flat_load_b32 v112, v[38:39]
	v_mov_b32_e32 v84, v0
	s_mov_b32 s26, exec_lo
	s_waitcnt vmcnt(0) lgkmcnt(0)
	v_cmpx_ngt_f32_e32 v112, v16
	s_cbranch_execz .LBB3_273
; %bb.258:                              ;   in Loop: Header=BB3_65 Depth=1
	v_add_co_u32 v51, vcc_lo, v1, v68
	v_add_co_ci_u32_e32 v52, vcc_lo, 0, v2, vcc_lo
	v_mov_b32_e32 v84, v0
	s_mov_b32 s27, exec_lo
	flat_load_u8 v51, v[51:52]
	s_waitcnt vmcnt(0) lgkmcnt(0)
	v_cmpx_eq_u16_e32 0, v51
	s_cbranch_execz .LBB3_272
; %bb.259:                              ;   in Loop: Header=BB3_65 Depth=1
	v_add_co_u32 v51, vcc_lo, v5, v68
	v_add_co_ci_u32_e32 v52, vcc_lo, 0, v6, vcc_lo
	v_mov_b32_e32 v84, v0
	s_mov_b32 s28, exec_lo
	flat_load_u8 v51, v[51:52]
	s_waitcnt vmcnt(0) lgkmcnt(0)
	v_cmpx_eq_u16_e32 0, v51
	s_cbranch_execz .LBB3_271
; %bb.260:                              ;   in Loop: Header=BB3_65 Depth=1
	v_mov_b32_e32 v84, v71
	s_mov_b32 s29, exec_lo
	v_cmpx_lt_i32_e64 v98, v13
	s_cbranch_execz .LBB3_268
; %bb.261:                              ;   in Loop: Header=BB3_65 Depth=1
	v_dual_mov_b32 v84, v71 :: v_dual_add_nc_u32 v51, v98, v50
	v_mov_b32_e32 v113, v98
	s_mov_b32 vcc_hi, 0
                                        ; implicit-def: $sgpr30
	s_delay_alu instid0(VALU_DEP_2) | instskip(NEXT) | instid1(VALU_DEP_1)
	v_ashrrev_i32_e32 v52, 31, v51
	v_lshlrev_b64 v[53:54], 2, v[51:52]
	s_delay_alu instid0(VALU_DEP_1) | instskip(NEXT) | instid1(VALU_DEP_2)
	v_add_co_u32 v51, vcc_lo, v3, v53
	v_add_co_ci_u32_e32 v52, vcc_lo, v4, v54, vcc_lo
	v_add_co_u32 v53, vcc_lo, v7, v53
	v_add_co_ci_u32_e32 v54, vcc_lo, v8, v54, vcc_lo
	s_set_inst_prefetch_distance 0x1
	s_branch .LBB3_264
.LBB3_262:                              ;   in Loop: Header=BB3_264 Depth=2
	s_or_b32 exec_lo, exec_lo, vcc_lo
	v_mov_b32_e32 v114, v113
	s_and_not1_b32 vcc_lo, s30, exec_lo
	s_and_b32 s30, s31, exec_lo
	s_delay_alu instid0(SALU_CYCLE_1)
	s_or_b32 s30, vcc_lo, s30
.LBB3_263:                              ;   in Loop: Header=BB3_264 Depth=2
	s_or_b32 exec_lo, exec_lo, s4
	v_dual_mov_b32 v113, v114 :: v_dual_add_nc_u32 v98, 1, v98
	v_add_co_u32 v51, s4, v51, 4
	s_xor_b32 s31, s30, -1
	s_delay_alu instid0(VALU_DEP_2)
	v_cmp_ge_i32_e32 vcc_lo, v98, v13
	v_add_co_ci_u32_e64 v52, s4, 0, v52, s4
	s_or_b32 s4, s31, vcc_lo
	v_add_co_u32 v53, vcc_lo, v53, 4
	v_add_co_ci_u32_e32 v54, vcc_lo, 0, v54, vcc_lo
	s_and_b32 s4, exec_lo, s4
	s_delay_alu instid0(SALU_CYCLE_1) | instskip(NEXT) | instid1(SALU_CYCLE_1)
	s_or_b32 vcc_hi, s4, vcc_hi
	s_and_not1_b32 exec_lo, exec_lo, vcc_hi
	s_cbranch_execz .LBB3_267
.LBB3_264:                              ;   Parent Loop BB3_65 Depth=1
                                        ; =>  This Inner Loop Header: Depth=2
	flat_load_b32 v115, v[53:54]
	v_mov_b32_e32 v114, v98
	s_and_not1_b32 s30, s30, exec_lo
	s_mov_b32 s4, exec_lo
	s_waitcnt vmcnt(0) lgkmcnt(0)
	v_cmpx_le_u32_e64 v115, v68
	s_cbranch_execz .LBB3_263
; %bb.265:                              ;   in Loop: Header=BB3_264 Depth=2
	v_cmp_eq_u32_e32 vcc_lo, v115, v68
	s_mov_b32 s31, -1
	s_and_saveexec_b32 s34, vcc_lo
	s_delay_alu instid0(SALU_CYCLE_1)
	s_mov_b32 vcc_lo, s34
	s_cbranch_execz .LBB3_262
; %bb.266:                              ;   in Loop: Header=BB3_264 Depth=2
	flat_load_b32 v84, v[51:52]
	s_xor_b32 s31, exec_lo, -1
	s_branch .LBB3_262
.LBB3_267:                              ;   in Loop: Header=BB3_65 Depth=1
	s_set_inst_prefetch_distance 0x2
	s_or_b32 exec_lo, exec_lo, vcc_hi
	v_mov_b32_e32 v98, v114
.LBB3_268:                              ;   in Loop: Header=BB3_65 Depth=1
	s_or_b32 exec_lo, exec_lo, s29
	s_delay_alu instid0(SALU_CYCLE_1)
	s_mov_b32 s4, exec_lo
	s_waitcnt vmcnt(0) lgkmcnt(0)
	v_cmpx_gt_f32_e32 v84, v112
	s_cbranch_execz .LBB3_270
; %bb.269:                              ;   in Loop: Header=BB3_65 Depth=1
	v_mov_b32_e32 v112, v84
	flat_store_b32 v[38:39], v84
.LBB3_270:                              ;   in Loop: Header=BB3_65 Depth=1
	s_or_b32 exec_lo, exec_lo, s4
	v_cmp_lt_f32_e32 vcc_lo, v112, v12
	v_mov_b32_e32 v84, v68
	v_cndmask_b32_e32 v12, v12, v112, vcc_lo
	v_cndmask_b32_e32 v97, v97, v68, vcc_lo
.LBB3_271:                              ;   in Loop: Header=BB3_65 Depth=1
	s_or_b32 exec_lo, exec_lo, s28
.LBB3_272:                              ;   in Loop: Header=BB3_65 Depth=1
	s_delay_alu instid0(SALU_CYCLE_1)
	s_or_b32 exec_lo, exec_lo, s27
.LBB3_273:                              ;   in Loop: Header=BB3_65 Depth=1
	s_delay_alu instid0(SALU_CYCLE_1)
	s_or_b32 exec_lo, exec_lo, s26
.LBB3_274:                              ;   in Loop: Header=BB3_65 Depth=1
	s_delay_alu instid0(SALU_CYCLE_1) | instskip(SKIP_2) | instid1(VALU_DEP_1)
	s_or_b32 exec_lo, exec_lo, s25
	v_cmp_lt_i32_e32 vcc_lo, -1, v67
	v_cmp_ne_u32_e64 s4, v67, v0
	s_and_b32 s4, vcc_lo, s4
	s_delay_alu instid0(SALU_CYCLE_1)
	s_and_saveexec_b32 s25, s4
	s_cbranch_execz .LBB3_292
; %bb.275:                              ;   in Loop: Header=BB3_65 Depth=1
	flat_load_b32 v68, v[48:49]
	v_mov_b32_e32 v51, v0
	s_mov_b32 s26, exec_lo
	s_waitcnt vmcnt(0) lgkmcnt(0)
	v_cmpx_ngt_f32_e32 v68, v16
	s_cbranch_execz .LBB3_291
; %bb.276:                              ;   in Loop: Header=BB3_65 Depth=1
	v_add_co_u32 v51, vcc_lo, v1, v67
	v_add_co_ci_u32_e32 v52, vcc_lo, 0, v2, vcc_lo
	flat_load_u8 v51, v[51:52]
	s_waitcnt vmcnt(0) lgkmcnt(0)
	v_cmp_eq_u16_e32 vcc_lo, 0, v51
	v_mov_b32_e32 v51, v0
	s_and_saveexec_b32 s27, vcc_lo
	s_cbranch_execz .LBB3_290
; %bb.277:                              ;   in Loop: Header=BB3_65 Depth=1
	v_add_co_u32 v51, vcc_lo, v5, v67
	v_add_co_ci_u32_e32 v52, vcc_lo, 0, v6, vcc_lo
	flat_load_u8 v51, v[51:52]
	s_waitcnt vmcnt(0) lgkmcnt(0)
	v_cmp_eq_u16_e32 vcc_lo, 0, v51
	v_mov_b32_e32 v51, v0
	s_and_saveexec_b32 s28, vcc_lo
	s_cbranch_execz .LBB3_289
; %bb.278:                              ;   in Loop: Header=BB3_65 Depth=1
	v_mov_b32_e32 v112, v71
	s_mov_b32 s29, exec_lo
	v_cmpx_lt_i32_e64 v98, v13
	s_cbranch_execz .LBB3_286
; %bb.279:                              ;   in Loop: Header=BB3_65 Depth=1
	v_dual_mov_b32 v112, v71 :: v_dual_add_nc_u32 v51, v98, v50
	v_mov_b32_e32 v113, v98
	s_mov_b32 vcc_hi, 0
                                        ; implicit-def: $sgpr30
	s_delay_alu instid0(VALU_DEP_2) | instskip(NEXT) | instid1(VALU_DEP_1)
	v_ashrrev_i32_e32 v52, 31, v51
	v_lshlrev_b64 v[53:54], 2, v[51:52]
	s_delay_alu instid0(VALU_DEP_1) | instskip(NEXT) | instid1(VALU_DEP_2)
	v_add_co_u32 v51, vcc_lo, v3, v53
	v_add_co_ci_u32_e32 v52, vcc_lo, v4, v54, vcc_lo
	v_add_co_u32 v53, vcc_lo, v7, v53
	v_add_co_ci_u32_e32 v54, vcc_lo, v8, v54, vcc_lo
	s_set_inst_prefetch_distance 0x1
	s_branch .LBB3_282
.LBB3_280:                              ;   in Loop: Header=BB3_282 Depth=2
	s_or_b32 exec_lo, exec_lo, vcc_lo
	v_mov_b32_e32 v114, v113
	s_and_not1_b32 vcc_lo, s30, exec_lo
	s_and_b32 s30, s31, exec_lo
	s_delay_alu instid0(SALU_CYCLE_1)
	s_or_b32 s30, vcc_lo, s30
.LBB3_281:                              ;   in Loop: Header=BB3_282 Depth=2
	s_or_b32 exec_lo, exec_lo, s4
	v_dual_mov_b32 v113, v114 :: v_dual_add_nc_u32 v98, 1, v98
	v_add_co_u32 v51, s4, v51, 4
	s_xor_b32 s31, s30, -1
	s_delay_alu instid0(VALU_DEP_2)
	v_cmp_ge_i32_e32 vcc_lo, v98, v13
	v_add_co_ci_u32_e64 v52, s4, 0, v52, s4
	s_or_b32 s4, s31, vcc_lo
	v_add_co_u32 v53, vcc_lo, v53, 4
	v_add_co_ci_u32_e32 v54, vcc_lo, 0, v54, vcc_lo
	s_and_b32 s4, exec_lo, s4
	s_delay_alu instid0(SALU_CYCLE_1) | instskip(NEXT) | instid1(SALU_CYCLE_1)
	s_or_b32 vcc_hi, s4, vcc_hi
	s_and_not1_b32 exec_lo, exec_lo, vcc_hi
	s_cbranch_execz .LBB3_285
.LBB3_282:                              ;   Parent Loop BB3_65 Depth=1
                                        ; =>  This Inner Loop Header: Depth=2
	flat_load_b32 v115, v[53:54]
	v_mov_b32_e32 v114, v98
	s_and_not1_b32 s30, s30, exec_lo
	s_mov_b32 s4, exec_lo
	s_waitcnt vmcnt(0) lgkmcnt(0)
	v_cmpx_le_u32_e64 v115, v67
	s_cbranch_execz .LBB3_281
; %bb.283:                              ;   in Loop: Header=BB3_282 Depth=2
	v_cmp_eq_u32_e32 vcc_lo, v115, v67
	s_mov_b32 s31, -1
	s_and_saveexec_b32 s34, vcc_lo
	s_delay_alu instid0(SALU_CYCLE_1)
	s_mov_b32 vcc_lo, s34
	s_cbranch_execz .LBB3_280
; %bb.284:                              ;   in Loop: Header=BB3_282 Depth=2
	flat_load_b32 v112, v[51:52]
	s_xor_b32 s31, exec_lo, -1
	s_branch .LBB3_280
.LBB3_285:                              ;   in Loop: Header=BB3_65 Depth=1
	s_set_inst_prefetch_distance 0x2
	s_or_b32 exec_lo, exec_lo, vcc_hi
	v_mov_b32_e32 v98, v114
.LBB3_286:                              ;   in Loop: Header=BB3_65 Depth=1
	s_or_b32 exec_lo, exec_lo, s29
	s_delay_alu instid0(SALU_CYCLE_1)
	s_mov_b32 s4, exec_lo
	s_waitcnt vmcnt(0) lgkmcnt(0)
	v_cmpx_gt_f32_e32 v112, v68
	s_cbranch_execz .LBB3_288
; %bb.287:                              ;   in Loop: Header=BB3_65 Depth=1
	v_mov_b32_e32 v68, v112
	flat_store_b32 v[48:49], v112
.LBB3_288:                              ;   in Loop: Header=BB3_65 Depth=1
	s_or_b32 exec_lo, exec_lo, s4
	v_cmp_lt_f32_e32 vcc_lo, v68, v12
	v_dual_mov_b32 v51, v67 :: v_dual_cndmask_b32 v12, v12, v68
	v_cndmask_b32_e32 v97, v97, v67, vcc_lo
.LBB3_289:                              ;   in Loop: Header=BB3_65 Depth=1
	s_or_b32 exec_lo, exec_lo, s28
.LBB3_290:                              ;   in Loop: Header=BB3_65 Depth=1
	s_delay_alu instid0(SALU_CYCLE_1)
	s_or_b32 exec_lo, exec_lo, s27
.LBB3_291:                              ;   in Loop: Header=BB3_65 Depth=1
	s_delay_alu instid0(SALU_CYCLE_1)
	s_or_b32 exec_lo, exec_lo, s26
	v_mov_b32_e32 v67, v51
.LBB3_292:                              ;   in Loop: Header=BB3_65 Depth=1
	s_or_b32 exec_lo, exec_lo, s25
	v_mov_b32_e32 v68, v84
.LBB3_293:                              ;   in Loop: Header=BB3_65 Depth=1
	s_or_b32 exec_lo, exec_lo, s24
	v_mov_b32_e32 v84, v86
.LBB3_294:                              ;   in Loop: Header=BB3_65 Depth=1
	s_or_b32 exec_lo, exec_lo, s23
	v_mov_b32_e32 v86, v87
.LBB3_295:                              ;   in Loop: Header=BB3_65 Depth=1
	s_or_b32 exec_lo, exec_lo, s22
	v_mov_b32_e32 v87, v96
.LBB3_296:                              ;   in Loop: Header=BB3_65 Depth=1
	s_or_b32 exec_lo, exec_lo, s21
	v_mov_b32_e32 v96, v99
.LBB3_297:                              ;   in Loop: Header=BB3_65 Depth=1
	s_or_b32 exec_lo, exec_lo, s20
	v_mov_b32_e32 v99, v100
.LBB3_298:                              ;   in Loop: Header=BB3_65 Depth=1
	s_or_b32 exec_lo, exec_lo, s19
	v_mov_b32_e32 v100, v101
.LBB3_299:                              ;   in Loop: Header=BB3_65 Depth=1
	s_or_b32 exec_lo, exec_lo, s18
	v_mov_b32_e32 v101, v102
.LBB3_300:                              ;   in Loop: Header=BB3_65 Depth=1
	s_or_b32 exec_lo, exec_lo, s17
	v_mov_b32_e32 v102, v103
.LBB3_301:                              ;   in Loop: Header=BB3_65 Depth=1
	s_or_b32 exec_lo, exec_lo, s16
	v_mov_b32_e32 v103, v65
.LBB3_302:                              ;   in Loop: Header=BB3_65 Depth=1
	s_or_b32 exec_lo, exec_lo, s15
	v_mov_b32_e32 v112, v64
.LBB3_303:                              ;   in Loop: Header=BB3_65 Depth=1
	s_or_b32 exec_lo, exec_lo, s7
	s_waitcnt lgkmcnt(0)
	s_waitcnt_vscnt null, 0x0
	s_barrier
	buffer_gl0_inv
	s_and_saveexec_b32 s7, s2
	s_cbranch_execz .LBB3_327
; %bb.304:                              ;   in Loop: Header=BB3_65 Depth=1
	v_mov_b32_e32 v51, v80
	s_mov_b32 s16, 12
	s_mov_b32 s15, 0
                                        ; implicit-def: $sgpr17
	s_branch .LBB3_311
.LBB3_305:                              ;   in Loop: Header=BB3_311 Depth=2
	s_or_b32 exec_lo, exec_lo, s4
	v_cmp_lt_f32_e32 vcc_lo, v114, v12
	v_dual_cndmask_b32 v12, v12, v114 :: v_dual_cndmask_b32 v97, v97, v113
.LBB3_306:                              ;   in Loop: Header=BB3_311 Depth=2
	s_or_b32 exec_lo, exec_lo, s22
.LBB3_307:                              ;   in Loop: Header=BB3_311 Depth=2
	s_delay_alu instid0(SALU_CYCLE_1)
	s_or_b32 exec_lo, exec_lo, s21
.LBB3_308:                              ;   in Loop: Header=BB3_311 Depth=2
	s_delay_alu instid0(SALU_CYCLE_1)
	s_or_b32 exec_lo, exec_lo, s20
.LBB3_309:                              ;   in Loop: Header=BB3_311 Depth=2
	s_delay_alu instid0(SALU_CYCLE_1) | instskip(SKIP_3) | instid1(VALU_DEP_1)
	s_or_b32 exec_lo, exec_lo, s19
	s_add_i32 s16, s16, 1
	s_and_not1_b32 s4, s17, exec_lo
	v_mad_u64_u32 v[51:52], null, s16, s12, v[17:18]
	v_cmp_ge_i32_e32 vcc_lo, v51, v13
	s_and_b32 s17, vcc_lo, exec_lo
	s_delay_alu instid0(SALU_CYCLE_1)
	s_or_b32 s17, s4, s17
.LBB3_310:                              ;   in Loop: Header=BB3_311 Depth=2
	s_or_b32 exec_lo, exec_lo, s18
	s_delay_alu instid0(SALU_CYCLE_1) | instskip(NEXT) | instid1(SALU_CYCLE_1)
	s_and_b32 s4, exec_lo, s17
	s_or_b32 s15, s4, s15
	s_delay_alu instid0(SALU_CYCLE_1)
	s_and_not1_b32 exec_lo, exec_lo, s15
	s_cbranch_execz .LBB3_326
.LBB3_311:                              ;   Parent Loop BB3_65 Depth=1
                                        ; =>  This Loop Header: Depth=2
                                        ;       Child Loop BB3_320 Depth 3
	s_delay_alu instid0(VALU_DEP_1) | instskip(SKIP_2) | instid1(VALU_DEP_1)
	v_add_nc_u32_e32 v52, v51, v66
	s_or_b32 s17, s17, exec_lo
	s_mov_b32 s18, exec_lo
	v_ashrrev_i32_e32 v53, 31, v52
	s_delay_alu instid0(VALU_DEP_1) | instskip(NEXT) | instid1(VALU_DEP_1)
	v_lshlrev_b64 v[52:53], 2, v[52:53]
	v_add_co_u32 v52, vcc_lo, v7, v52
	s_delay_alu instid0(VALU_DEP_2)
	v_add_co_ci_u32_e32 v53, vcc_lo, v8, v53, vcc_lo
	flat_load_b32 v113, v[52:53]
	s_waitcnt vmcnt(0) lgkmcnt(0)
	v_cmpx_lt_i32_e32 -1, v113
	s_cbranch_execz .LBB3_310
; %bb.312:                              ;   in Loop: Header=BB3_311 Depth=2
	s_mov_b32 s19, exec_lo
	v_cmpx_ne_u32_e64 v113, v0
	s_cbranch_execz .LBB3_309
; %bb.313:                              ;   in Loop: Header=BB3_311 Depth=2
	v_ashrrev_i32_e32 v52, 31, v51
	s_mov_b32 s20, exec_lo
	s_delay_alu instid0(VALU_DEP_1) | instskip(NEXT) | instid1(VALU_DEP_1)
	v_lshlrev_b64 v[51:52], 2, v[51:52]
	v_add_co_u32 v51, vcc_lo, v9, v51
	s_delay_alu instid0(VALU_DEP_2)
	v_add_co_ci_u32_e32 v52, vcc_lo, v10, v52, vcc_lo
	flat_load_b32 v114, v[51:52]
	s_waitcnt vmcnt(0) lgkmcnt(0)
	v_cmpx_ngt_f32_e32 v114, v16
	s_cbranch_execz .LBB3_308
; %bb.314:                              ;   in Loop: Header=BB3_311 Depth=2
	v_add_co_u32 v53, vcc_lo, v1, v113
	v_add_co_ci_u32_e32 v54, vcc_lo, 0, v2, vcc_lo
	s_mov_b32 s21, exec_lo
	flat_load_u8 v53, v[53:54]
	s_waitcnt vmcnt(0) lgkmcnt(0)
	v_cmpx_eq_u16_e32 0, v53
	s_cbranch_execz .LBB3_307
; %bb.315:                              ;   in Loop: Header=BB3_311 Depth=2
	v_add_co_u32 v53, vcc_lo, v5, v113
	v_add_co_ci_u32_e32 v54, vcc_lo, 0, v6, vcc_lo
	s_mov_b32 s22, exec_lo
	flat_load_u8 v53, v[53:54]
	s_waitcnt vmcnt(0) lgkmcnt(0)
	v_cmpx_eq_u16_e32 0, v53
	s_cbranch_execz .LBB3_306
; %bb.316:                              ;   in Loop: Header=BB3_311 Depth=2
	v_mov_b32_e32 v115, v71
	s_mov_b32 s23, exec_lo
	v_cmpx_lt_i32_e64 v98, v13
	s_cbranch_execz .LBB3_324
; %bb.317:                              ;   in Loop: Header=BB3_311 Depth=2
	v_add_nc_u32_e32 v53, v50, v98
	v_dual_mov_b32 v116, v98 :: v_dual_mov_b32 v115, v71
	s_mov_b32 s24, 0
                                        ; implicit-def: $sgpr25
	s_delay_alu instid0(VALU_DEP_2) | instskip(NEXT) | instid1(VALU_DEP_1)
	v_ashrrev_i32_e32 v54, 31, v53
	v_lshlrev_b64 v[64:65], 2, v[53:54]
	s_delay_alu instid0(VALU_DEP_1) | instskip(NEXT) | instid1(VALU_DEP_2)
	v_add_co_u32 v53, vcc_lo, v3, v64
	v_add_co_ci_u32_e32 v54, vcc_lo, v4, v65, vcc_lo
	v_add_co_u32 v64, vcc_lo, v7, v64
	v_add_co_ci_u32_e32 v65, vcc_lo, v8, v65, vcc_lo
	s_set_inst_prefetch_distance 0x1
	s_branch .LBB3_320
	.p2align	6
.LBB3_318:                              ;   in Loop: Header=BB3_320 Depth=3
	s_or_b32 exec_lo, exec_lo, s27
	v_mov_b32_e32 v117, v116
	s_and_not1_b32 s25, s25, exec_lo
	s_and_b32 s26, s26, exec_lo
	s_delay_alu instid0(SALU_CYCLE_1)
	s_or_b32 s25, s25, s26
.LBB3_319:                              ;   in Loop: Header=BB3_320 Depth=3
	s_or_b32 exec_lo, exec_lo, s4
	v_add_nc_u32_e32 v98, 1, v98
	v_add_co_u32 v53, s4, v53, 4
	s_xor_b32 s26, s25, -1
	v_add_co_ci_u32_e64 v54, s4, 0, v54, s4
	s_delay_alu instid0(VALU_DEP_3)
	v_cmp_ge_i32_e32 vcc_lo, v98, v13
	v_mov_b32_e32 v116, v117
	s_or_b32 s4, s26, vcc_lo
	v_add_co_u32 v64, vcc_lo, v64, 4
	v_add_co_ci_u32_e32 v65, vcc_lo, 0, v65, vcc_lo
	s_and_b32 s4, exec_lo, s4
	s_delay_alu instid0(SALU_CYCLE_1) | instskip(NEXT) | instid1(SALU_CYCLE_1)
	s_or_b32 s24, s4, s24
	s_and_not1_b32 exec_lo, exec_lo, s24
	s_cbranch_execz .LBB3_323
.LBB3_320:                              ;   Parent Loop BB3_65 Depth=1
                                        ;     Parent Loop BB3_311 Depth=2
                                        ; =>    This Inner Loop Header: Depth=3
	flat_load_b32 v118, v[64:65]
	v_mov_b32_e32 v117, v98
	s_and_not1_b32 s25, s25, exec_lo
	s_mov_b32 s4, exec_lo
	s_waitcnt vmcnt(0) lgkmcnt(0)
	v_cmpx_le_u32_e64 v118, v113
	s_cbranch_execz .LBB3_319
; %bb.321:                              ;   in Loop: Header=BB3_320 Depth=3
	s_mov_b32 s26, -1
	s_mov_b32 s27, exec_lo
	v_cmpx_eq_u32_e64 v118, v113
	s_cbranch_execz .LBB3_318
; %bb.322:                              ;   in Loop: Header=BB3_320 Depth=3
	flat_load_b32 v115, v[53:54]
	s_xor_b32 s26, exec_lo, -1
	s_branch .LBB3_318
.LBB3_323:                              ;   in Loop: Header=BB3_311 Depth=2
	s_set_inst_prefetch_distance 0x2
	s_or_b32 exec_lo, exec_lo, s24
	v_mov_b32_e32 v98, v117
.LBB3_324:                              ;   in Loop: Header=BB3_311 Depth=2
	s_or_b32 exec_lo, exec_lo, s23
	s_delay_alu instid0(SALU_CYCLE_1)
	s_mov_b32 s4, exec_lo
	s_waitcnt vmcnt(0) lgkmcnt(0)
	v_cmpx_gt_f32_e32 v115, v114
	s_cbranch_execz .LBB3_305
; %bb.325:                              ;   in Loop: Header=BB3_311 Depth=2
	v_mov_b32_e32 v114, v115
	flat_store_b32 v[51:52], v115
	s_branch .LBB3_305
.LBB3_326:                              ;   in Loop: Header=BB3_65 Depth=1
	s_or_b32 exec_lo, exec_lo, s15
.LBB3_327:                              ;   in Loop: Header=BB3_65 Depth=1
	s_delay_alu instid0(SALU_CYCLE_1)
	s_or_b32 exec_lo, exec_lo, s7
	s_waitcnt lgkmcnt(0)
	s_waitcnt_vscnt null, 0x0
	s_barrier
	buffer_gl0_inv
	ds_store_b32 v55, v12
	ds_store_b32 v81, v97
	s_waitcnt lgkmcnt(0)
	s_barrier
	buffer_gl0_inv
	s_and_saveexec_b32 s4, s0
	s_cbranch_execz .LBB3_379
; %bb.328:                              ;   in Loop: Header=BB3_65 Depth=1
	s_and_not1_b32 vcc_lo, exec_lo, s8
	s_cbranch_vccnz .LBB3_377
; %bb.329:                              ;   in Loop: Header=BB3_65 Depth=1
	ds_load_b32 v50, v70 offset:256
	s_and_not1_b32 vcc_lo, exec_lo, s10
	s_mov_b32 s7, 1
	s_cbranch_vccnz .LBB3_366
; %bb.330:                              ;   in Loop: Header=BB3_65 Depth=1
	s_mov_b32 s15, 0
	s_mov_b32 s7, 4
.LBB3_331:                              ;   Parent Loop BB3_65 Depth=1
                                        ; =>  This Inner Loop Header: Depth=2
	s_delay_alu instid0(SALU_CYCLE_1)
	v_mov_b32_e32 v51, s7
	s_mov_b32 s16, 0
	s_mov_b32 s17, exec_lo
                                        ; implicit-def: $vgpr52
	ds_load_b32 v51, v51
	s_waitcnt lgkmcnt(0)
	v_cmpx_nlt_f32_e32 v51, v12
	s_xor_b32 s17, exec_lo, s17
	s_cbranch_execnz .LBB3_349
; %bb.332:                              ;   in Loop: Header=BB3_331 Depth=2
	s_and_not1_saveexec_b32 s17, s17
	s_cbranch_execnz .LBB3_352
.LBB3_333:                              ;   in Loop: Header=BB3_331 Depth=2
	s_or_b32 exec_lo, exec_lo, s17
	s_and_saveexec_b32 s17, s16
	s_cbranch_execz .LBB3_335
.LBB3_334:                              ;   in Loop: Header=BB3_331 Depth=2
	s_waitcnt lgkmcnt(0)
	v_mov_b32_e32 v50, v52
	v_mov_b32_e32 v12, v51
	ds_store_b32 v70, v52 offset:256
.LBB3_335:                              ;   in Loop: Header=BB3_331 Depth=2
	s_or_b32 exec_lo, exec_lo, s17
	v_mov_b32_e32 v51, s7
	s_mov_b32 s16, 0
	s_mov_b32 s17, exec_lo
                                        ; implicit-def: $vgpr52
	ds_load_b32 v51, v51 offset:4
	s_waitcnt lgkmcnt(0)
	v_cmpx_nlt_f32_e32 v51, v12
	s_xor_b32 s17, exec_lo, s17
	s_cbranch_execnz .LBB3_353
; %bb.336:                              ;   in Loop: Header=BB3_331 Depth=2
	s_and_not1_saveexec_b32 s17, s17
	s_cbranch_execnz .LBB3_356
.LBB3_337:                              ;   in Loop: Header=BB3_331 Depth=2
	s_or_b32 exec_lo, exec_lo, s17
	s_and_saveexec_b32 s17, s16
	s_cbranch_execz .LBB3_339
.LBB3_338:                              ;   in Loop: Header=BB3_331 Depth=2
	s_waitcnt lgkmcnt(0)
	v_mov_b32_e32 v50, v52
	v_mov_b32_e32 v12, v51
	ds_store_b32 v70, v52 offset:256
.LBB3_339:                              ;   in Loop: Header=BB3_331 Depth=2
	s_or_b32 exec_lo, exec_lo, s17
	v_mov_b32_e32 v51, s7
	s_mov_b32 s16, 0
	s_mov_b32 s17, exec_lo
                                        ; implicit-def: $vgpr52
	ds_load_b32 v51, v51 offset:8
	s_waitcnt lgkmcnt(0)
	v_cmpx_nlt_f32_e32 v51, v12
	s_xor_b32 s17, exec_lo, s17
	s_cbranch_execnz .LBB3_357
; %bb.340:                              ;   in Loop: Header=BB3_331 Depth=2
	s_and_not1_saveexec_b32 s17, s17
	s_cbranch_execnz .LBB3_360
.LBB3_341:                              ;   in Loop: Header=BB3_331 Depth=2
	s_or_b32 exec_lo, exec_lo, s17
	s_and_saveexec_b32 s17, s16
	s_cbranch_execz .LBB3_343
.LBB3_342:                              ;   in Loop: Header=BB3_331 Depth=2
	s_waitcnt lgkmcnt(0)
	v_mov_b32_e32 v50, v52
	v_mov_b32_e32 v12, v51
	ds_store_b32 v70, v52 offset:256
.LBB3_343:                              ;   in Loop: Header=BB3_331 Depth=2
	s_or_b32 exec_lo, exec_lo, s17
	v_mov_b32_e32 v51, s7
	s_mov_b32 s16, 0
	s_mov_b32 s17, exec_lo
                                        ; implicit-def: $vgpr52
	ds_load_b32 v51, v51 offset:12
	s_waitcnt lgkmcnt(0)
	v_cmpx_nlt_f32_e32 v51, v12
	s_xor_b32 s17, exec_lo, s17
	s_cbranch_execnz .LBB3_361
; %bb.344:                              ;   in Loop: Header=BB3_331 Depth=2
	s_and_not1_saveexec_b32 s17, s17
	s_cbranch_execnz .LBB3_364
.LBB3_345:                              ;   in Loop: Header=BB3_331 Depth=2
	s_or_b32 exec_lo, exec_lo, s17
	s_and_saveexec_b32 s17, s16
	s_cbranch_execz .LBB3_347
.LBB3_346:                              ;   in Loop: Header=BB3_331 Depth=2
	s_waitcnt lgkmcnt(0)
	v_mov_b32_e32 v50, v52
	v_mov_b32_e32 v12, v51
	ds_store_b32 v70, v52 offset:256
.LBB3_347:                              ;   in Loop: Header=BB3_331 Depth=2
	s_or_b32 exec_lo, exec_lo, s17
	s_add_i32 s16, s15, 4
	s_add_i32 s7, s7, 16
	s_cmp_eq_u32 s11, s16
	s_cbranch_scc1 .LBB3_365
; %bb.348:                              ;   in Loop: Header=BB3_331 Depth=2
	s_mov_b32 s15, s16
	s_branch .LBB3_331
.LBB3_349:                              ;   in Loop: Header=BB3_331 Depth=2
	s_mov_b32 s18, exec_lo
                                        ; implicit-def: $vgpr52
	v_cmpx_eq_f32_e32 v51, v12
	s_xor_b32 s18, exec_lo, s18
	s_cbranch_execz .LBB3_351
; %bb.350:                              ;   in Loop: Header=BB3_331 Depth=2
	v_mov_b32_e32 v52, s7
	ds_load_b32 v52, v52 offset:256
	s_waitcnt lgkmcnt(0)
	v_cmp_lt_i32_e32 vcc_lo, v52, v50
	s_and_b32 s16, vcc_lo, exec_lo
.LBB3_351:                              ;   in Loop: Header=BB3_331 Depth=2
	s_or_b32 exec_lo, exec_lo, s18
	s_delay_alu instid0(SALU_CYCLE_1)
	s_and_b32 s16, s16, exec_lo
	s_and_not1_saveexec_b32 s17, s17
	s_cbranch_execz .LBB3_333
.LBB3_352:                              ;   in Loop: Header=BB3_331 Depth=2
	v_mov_b32_e32 v12, s7
	s_or_b32 s16, s16, exec_lo
                                        ; implicit-def: $vgpr50
	ds_load_b32 v52, v12 offset:256
                                        ; implicit-def: $vgpr12
	s_or_b32 exec_lo, exec_lo, s17
	s_and_saveexec_b32 s17, s16
	s_cbranch_execnz .LBB3_334
	s_branch .LBB3_335
.LBB3_353:                              ;   in Loop: Header=BB3_331 Depth=2
	s_mov_b32 s18, exec_lo
                                        ; implicit-def: $vgpr52
	v_cmpx_eq_f32_e32 v51, v12
	s_cbranch_execz .LBB3_355
; %bb.354:                              ;   in Loop: Header=BB3_331 Depth=2
	v_mov_b32_e32 v52, s7
	ds_load_b32 v52, v52 offset:260
	s_waitcnt lgkmcnt(0)
	v_cmp_lt_i32_e32 vcc_lo, v52, v50
	s_and_b32 s16, vcc_lo, exec_lo
.LBB3_355:                              ;   in Loop: Header=BB3_331 Depth=2
	s_or_b32 exec_lo, exec_lo, s18
	s_delay_alu instid0(SALU_CYCLE_1)
	s_and_b32 s16, s16, exec_lo
	s_and_not1_saveexec_b32 s17, s17
	s_cbranch_execz .LBB3_337
.LBB3_356:                              ;   in Loop: Header=BB3_331 Depth=2
	v_mov_b32_e32 v12, s7
	s_or_b32 s16, s16, exec_lo
                                        ; implicit-def: $vgpr50
	ds_load_b32 v52, v12 offset:260
                                        ; implicit-def: $vgpr12
	s_or_b32 exec_lo, exec_lo, s17
	s_and_saveexec_b32 s17, s16
	s_cbranch_execnz .LBB3_338
	s_branch .LBB3_339
.LBB3_357:                              ;   in Loop: Header=BB3_331 Depth=2
	s_mov_b32 s18, exec_lo
                                        ; implicit-def: $vgpr52
	v_cmpx_eq_f32_e32 v51, v12
	s_cbranch_execz .LBB3_359
; %bb.358:                              ;   in Loop: Header=BB3_331 Depth=2
	v_mov_b32_e32 v52, s7
	ds_load_b32 v52, v52 offset:264
	s_waitcnt lgkmcnt(0)
	v_cmp_lt_i32_e32 vcc_lo, v52, v50
	s_and_b32 s16, vcc_lo, exec_lo
.LBB3_359:                              ;   in Loop: Header=BB3_331 Depth=2
	s_or_b32 exec_lo, exec_lo, s18
	s_delay_alu instid0(SALU_CYCLE_1)
	s_and_b32 s16, s16, exec_lo
	s_and_not1_saveexec_b32 s17, s17
	s_cbranch_execz .LBB3_341
.LBB3_360:                              ;   in Loop: Header=BB3_331 Depth=2
	v_mov_b32_e32 v12, s7
	s_or_b32 s16, s16, exec_lo
                                        ; implicit-def: $vgpr50
	ds_load_b32 v52, v12 offset:264
                                        ; implicit-def: $vgpr12
	s_or_b32 exec_lo, exec_lo, s17
	s_and_saveexec_b32 s17, s16
	s_cbranch_execnz .LBB3_342
	s_branch .LBB3_343
.LBB3_361:                              ;   in Loop: Header=BB3_331 Depth=2
	s_mov_b32 s18, exec_lo
                                        ; implicit-def: $vgpr52
	v_cmpx_eq_f32_e32 v51, v12
	s_cbranch_execz .LBB3_363
; %bb.362:                              ;   in Loop: Header=BB3_331 Depth=2
	v_mov_b32_e32 v52, s7
	ds_load_b32 v52, v52 offset:268
	s_waitcnt lgkmcnt(0)
	v_cmp_lt_i32_e32 vcc_lo, v52, v50
	s_and_b32 s16, vcc_lo, exec_lo
.LBB3_363:                              ;   in Loop: Header=BB3_331 Depth=2
	s_or_b32 exec_lo, exec_lo, s18
	s_delay_alu instid0(SALU_CYCLE_1)
	s_and_b32 s16, s16, exec_lo
	s_and_not1_saveexec_b32 s17, s17
	s_cbranch_execz .LBB3_345
.LBB3_364:                              ;   in Loop: Header=BB3_331 Depth=2
	v_mov_b32_e32 v12, s7
	s_or_b32 s16, s16, exec_lo
                                        ; implicit-def: $vgpr50
	ds_load_b32 v52, v12 offset:268
                                        ; implicit-def: $vgpr12
	s_or_b32 exec_lo, exec_lo, s17
	s_and_saveexec_b32 s17, s16
	s_cbranch_execnz .LBB3_346
	s_branch .LBB3_347
.LBB3_365:                              ;   in Loop: Header=BB3_65 Depth=1
	s_add_i32 s7, s15, 5
.LBB3_366:                              ;   in Loop: Header=BB3_65 Depth=1
	s_and_not1_b32 vcc_lo, exec_lo, s14
	s_cbranch_vccnz .LBB3_377
; %bb.367:                              ;   in Loop: Header=BB3_65 Depth=1
	s_lshl_b32 s7, s7, 2
	s_mov_b32 s15, s9
	s_set_inst_prefetch_distance 0x1
	s_branch .LBB3_369
	.p2align	6
.LBB3_368:                              ;   in Loop: Header=BB3_369 Depth=2
	s_or_b32 exec_lo, exec_lo, s17
	s_add_i32 s15, s15, -1
	s_add_i32 s7, s7, 4
	s_cmp_lg_u32 s15, 0
	s_cbranch_scc0 .LBB3_377
.LBB3_369:                              ;   Parent Loop BB3_65 Depth=1
                                        ; =>  This Inner Loop Header: Depth=2
	v_mov_b32_e32 v51, s7
	s_mov_b32 s16, 0
	s_mov_b32 s17, exec_lo
                                        ; implicit-def: $vgpr52
	ds_load_b32 v51, v51
	s_waitcnt lgkmcnt(0)
	v_cmpx_nlt_f32_e32 v51, v12
	s_xor_b32 s17, exec_lo, s17
	s_cbranch_execnz .LBB3_372
; %bb.370:                              ;   in Loop: Header=BB3_369 Depth=2
	s_and_not1_saveexec_b32 s17, s17
	s_cbranch_execnz .LBB3_375
.LBB3_371:                              ;   in Loop: Header=BB3_369 Depth=2
	s_or_b32 exec_lo, exec_lo, s17
	s_and_saveexec_b32 s17, s16
	s_cbranch_execz .LBB3_368
	s_branch .LBB3_376
.LBB3_372:                              ;   in Loop: Header=BB3_369 Depth=2
	s_mov_b32 s18, exec_lo
                                        ; implicit-def: $vgpr52
	v_cmpx_eq_f32_e32 v51, v12
	s_cbranch_execz .LBB3_374
; %bb.373:                              ;   in Loop: Header=BB3_369 Depth=2
	v_mov_b32_e32 v52, s7
	ds_load_b32 v52, v52 offset:256
	s_waitcnt lgkmcnt(0)
	v_cmp_lt_i32_e32 vcc_lo, v52, v50
	s_and_b32 s16, vcc_lo, exec_lo
.LBB3_374:                              ;   in Loop: Header=BB3_369 Depth=2
	s_or_b32 exec_lo, exec_lo, s18
	s_delay_alu instid0(SALU_CYCLE_1)
	s_and_b32 s16, s16, exec_lo
	s_and_not1_saveexec_b32 s17, s17
	s_cbranch_execz .LBB3_371
.LBB3_375:                              ;   in Loop: Header=BB3_369 Depth=2
	v_mov_b32_e32 v12, s7
	s_or_b32 s16, s16, exec_lo
                                        ; implicit-def: $vgpr50
	ds_load_b32 v52, v12 offset:256
                                        ; implicit-def: $vgpr12
	s_or_b32 exec_lo, exec_lo, s17
	s_and_saveexec_b32 s17, s16
	s_cbranch_execz .LBB3_368
.LBB3_376:                              ;   in Loop: Header=BB3_369 Depth=2
	s_waitcnt lgkmcnt(0)
	v_mov_b32_e32 v50, v52
	v_mov_b32_e32 v12, v51
	ds_store_b32 v70, v52 offset:256
	s_branch .LBB3_368
.LBB3_377:                              ;   in Loop: Header=BB3_65 Depth=1
	s_set_inst_prefetch_distance 0x2
	v_cmp_gt_f32_e32 vcc_lo, v12, v16
	s_and_b32 exec_lo, exec_lo, vcc_lo
	s_cbranch_execz .LBB3_379
; %bb.378:                              ;   in Loop: Header=BB3_65 Depth=1
	ds_store_b32 v70, v82 offset:256
.LBB3_379:                              ;   in Loop: Header=BB3_65 Depth=1
	s_or_b32 exec_lo, exec_lo, s4
	s_waitcnt lgkmcnt(0)
	s_barrier
	buffer_gl0_inv
	ds_load_b32 v50, v70 offset:256
	s_waitcnt lgkmcnt(0)
	v_readfirstlane_b32 s4, v50
	v_cmp_gt_i32_e32 vcc_lo, 0, v50
	s_delay_alu instid0(VALU_DEP_2)
	s_cmp_gt_i32 s4, -1
	s_cselect_b32 s4, -1, 0
	s_cbranch_vccnz .LBB3_383
; %bb.380:                              ;   in Loop: Header=BB3_65 Depth=1
	s_and_saveexec_b32 s15, s0
	s_cbranch_execz .LBB3_63
; %bb.381:                              ;   in Loop: Header=BB3_65 Depth=1
	v_add_co_u32 v51, vcc_lo, v1, v50
	v_add_co_ci_u32_e32 v52, vcc_lo, 0, v2, vcc_lo
	flat_store_b8 v[51:52], v83
	s_and_b32 exec_lo, exec_lo, s3
	s_cbranch_execz .LBB3_63
; %bb.382:                              ;   in Loop: Header=BB3_65 Depth=1
	s_ashr_i32 s7, s6, 31
	s_delay_alu instid0(SALU_CYCLE_1) | instskip(NEXT) | instid1(SALU_CYCLE_1)
	s_lshl_b64 s[16:17], s[6:7], 2
	v_add_co_u32 v51, vcc_lo, v14, s16
	v_add_co_ci_u32_e32 v52, vcc_lo, s17, v15, vcc_lo
	flat_store_b32 v[51:52], v50
	s_branch .LBB3_63
.LBB3_383:                              ;   in Loop: Header=BB3_65 Depth=1
	v_mov_b32_e32 v50, v85
	s_branch .LBB3_64
.LBB3_384:
	s_or_b32 exec_lo, exec_lo, s13
.LBB3_385:
	s_delay_alu instid0(SALU_CYCLE_1)
	s_or_b32 exec_lo, exec_lo, s5
	v_readlane_b32 s30, v40, 2
	s_barrier
	buffer_gl0_inv
	v_mov_b32_e32 v0, v12
	v_readlane_b32 s31, v40, 3
	v_readlane_b32 s35, v40, 1
	;; [unrolled: 1-line block ×3, first 2 shown]
	s_or_saveexec_b32 s0, -1
	scratch_load_b32 v40, off, s32          ; 4-byte Folded Reload
	s_mov_b32 exec_lo, s0
	s_waitcnt vmcnt(0)
	s_setpc_b64 s[30:31]
.Lfunc_end3:
	.size	_Z42generate_candidate_cluster_compact_storageiiPcPfS_PiS0_iiiS1_f, .Lfunc_end3-_Z42generate_candidate_cluster_compact_storageiiPcPfS_PiS0_iiiS1_f
                                        ; -- End function
	.section	.AMDGPU.csdata,"",@progbits
; Function info:
; codeLenInByte = 11132
; NumSgprs: 38
; NumVgprs: 119
; ScratchSize: 8
; MemoryBound: 0
	.text
	.protected	_Z30trim_ungrouped_pnts_indr_arrayiPiPfS_PcS1_S_S_S0_S_iiif ; -- Begin function _Z30trim_ungrouped_pnts_indr_arrayiPiPfS_PcS1_S_S_S0_S_iiif
	.globl	_Z30trim_ungrouped_pnts_indr_arrayiPiPfS_PcS1_S_S_S0_S_iiif
	.p2align	8
	.type	_Z30trim_ungrouped_pnts_indr_arrayiPiPfS_PcS1_S_S_S0_S_iiif,@function
_Z30trim_ungrouped_pnts_indr_arrayiPiPfS_PcS1_S_S_S0_S_iiif: ; @_Z30trim_ungrouped_pnts_indr_arrayiPiPfS_PcS1_S_S_S0_S_iiif
; %bb.0:
	s_clause 0x5
	s_load_b32 s10, s[0:1], 0x0
	s_load_b256 s[36:43], s[0:1], 0x8
	s_load_b128 s[4:7], s[0:1], 0x28
	s_load_b64 s[2:3], s[0:1], 0x40
	s_load_b128 s[44:47], s[0:1], 0x50
	s_load_b64 s[48:49], s[0:1], 0x6c
	v_mov_b32_e32 v41, v0
	v_mov_b32_e32 v31, v0
	s_add_u32 s8, s0, 0x60
	s_mov_b32 s12, s13
	s_addc_u32 s9, s1, 0
	s_mov_b32 s13, s14
	s_mov_b32 s14, s15
	;; [unrolled: 1-line block ×3, first 2 shown]
	s_getpc_b64 s[0:1]
	s_add_u32 s0, s0, _Z42generate_candidate_cluster_compact_storageiiPcPfS_PiS0_iiiS1_f@rel32@lo+4
	s_addc_u32 s1, s1, _Z42generate_candidate_cluster_compact_storageiiPcPfS_PiS0_iiiS1_f@rel32@hi+12
	s_waitcnt lgkmcnt(0)
	v_mov_b32_e32 v0, s10
	v_dual_mov_b32 v2, s43 :: v_dual_mov_b32 v1, s42
	v_dual_mov_b32 v4, s39 :: v_dual_mov_b32 v3, s38
	;; [unrolled: 1-line block ×8, first 2 shown]
	s_swappc_b64 s[30:31], s[0:1]
	v_cmp_eq_u32_e64 s0, 0, v41
	s_delay_alu instid0(VALU_DEP_1)
	s_and_saveexec_b32 s1, s0
	s_cbranch_execz .LBB4_2
; %bb.1:
	v_mov_b32_e32 v0, 0
	ds_store_b32 v0, v0 offset:768
	ds_store_b8 v0, v0 offset:772
.LBB4_2:
	s_or_b32 exec_lo, exec_lo, s1
	s_waitcnt lgkmcnt(0)
	s_waitcnt_vscnt null, 0x0
	s_barrier
	buffer_gl0_inv
	s_mov_b32 s1, exec_lo
	v_cmpx_gt_i32_e64 s44, v41
	s_cbranch_execz .LBB4_20
; %bb.3:
	s_lshr_b32 s1, s48, 16
	s_and_b32 s2, s48, 0xffff
	s_and_b32 s49, s49, 0xffff
	s_mul_i32 s1, s1, s2
	s_and_b32 s2, s49, 0xffff
	v_lshl_add_u32 v0, v41, 2, 0x200
	s_mul_i32 s1, s1, s2
	v_mov_b32_e32 v1, 0
	s_cmp_gt_i32 s1, 0
	v_not_b32_e32 v2, 41
	v_mov_b32_e32 v3, 1
	s_cselect_b32 s2, -1, 0
	s_mov_b32 s4, 0
	s_xor_b32 s5, s2, -1
	s_mov_b32 s6, 0
	s_branch .LBB4_7
.LBB4_4:                                ;   in Loop: Header=BB4_7 Depth=1
	s_set_inst_prefetch_distance 0x2
	s_mov_b32 s3, s2
.LBB4_5:                                ;   in Loop: Header=BB4_7 Depth=1
	s_delay_alu instid0(SALU_CYCLE_1)
	v_mov_b32_e32 v4, s3
	ds_store_b32 v1, v4 offset:768
	ds_store_b8 v1, v1 offset:772
.LBB4_6:                                ;   in Loop: Header=BB4_7 Depth=1
	s_or_b32 exec_lo, exec_lo, s7
	s_add_i32 s6, s6, s1
	s_waitcnt lgkmcnt(0)
	s_waitcnt_vscnt null, 0x0
	v_add_nc_u32_e32 v4, s6, v41
	s_barrier
	buffer_gl0_inv
	v_cmp_le_i32_e32 vcc_lo, s44, v4
	s_or_b32 s4, vcc_lo, s4
	s_delay_alu instid0(SALU_CYCLE_1)
	s_and_not1_b32 exec_lo, exec_lo, s4
	s_cbranch_execz .LBB4_20
.LBB4_7:                                ; =>This Loop Header: Depth=1
                                        ;     Child Loop BB4_18 Depth 2
	v_add_nc_u32_e32 v4, s6, v41
	s_mov_b32 s2, exec_lo
	s_delay_alu instid0(VALU_DEP_1) | instskip(NEXT) | instid1(VALU_DEP_1)
	v_ashrrev_i32_e32 v5, 31, v4
	v_lshlrev_b64 v[4:5], 2, v[4:5]
	s_delay_alu instid0(VALU_DEP_1) | instskip(NEXT) | instid1(VALU_DEP_2)
	v_add_co_u32 v4, vcc_lo, s36, v4
	v_add_co_ci_u32_e32 v5, vcc_lo, s37, v5, vcc_lo
	global_load_b32 v4, v[4:5], off
	s_waitcnt vmcnt(0)
	v_ashrrev_i32_e32 v6, 31, v4
	v_add_co_u32 v5, vcc_lo, s42, v4
	ds_store_b32 v0, v4
	v_add_co_ci_u32_e32 v6, vcc_lo, s43, v6, vcc_lo
	global_load_u8 v5, v[5:6], off
	s_waitcnt vmcnt(0)
	v_cmpx_ne_u16_e32 1, v5
	s_xor_b32 s2, exec_lo, s2
	s_cbranch_execz .LBB4_9
; %bb.8:                                ;   in Loop: Header=BB4_7 Depth=1
	ds_load_b32 v5, v1 offset:768
	s_waitcnt lgkmcnt(0)
	v_add_nc_u32_e32 v5, v5, v41
	s_delay_alu instid0(VALU_DEP_1) | instskip(NEXT) | instid1(VALU_DEP_1)
	v_ashrrev_i32_e32 v6, 31, v5
	v_lshlrev_b64 v[5:6], 2, v[5:6]
	s_delay_alu instid0(VALU_DEP_1) | instskip(NEXT) | instid1(VALU_DEP_2)
	v_add_co_u32 v5, vcc_lo, s36, v5
	v_add_co_ci_u32_e32 v6, vcc_lo, s37, v6, vcc_lo
	global_store_b32 v[5:6], v4, off
.LBB4_9:                                ;   in Loop: Header=BB4_7 Depth=1
	s_and_not1_saveexec_b32 s2, s2
	s_cbranch_execz .LBB4_11
; %bb.10:                               ;   in Loop: Header=BB4_7 Depth=1
	ds_store_b8 v1, v3 offset:772
	ds_store_b32 v0, v2
.LBB4_11:                               ;   in Loop: Header=BB4_7 Depth=1
	s_or_b32 exec_lo, exec_lo, s2
	s_waitcnt lgkmcnt(0)
	s_waitcnt_vscnt null, 0x0
	s_barrier
	buffer_gl0_inv
	s_and_saveexec_b32 s7, s0
	s_cbranch_execz .LBB4_6
; %bb.12:                               ;   in Loop: Header=BB4_7 Depth=1
	ds_load_u8 v4, v1 offset:772
	ds_load_b32 v5, v1 offset:768
	s_mov_b32 s8, -1
                                        ; implicit-def: $sgpr3
	s_waitcnt lgkmcnt(1)
	v_cmp_eq_u32_e32 vcc_lo, 0, v4
	s_waitcnt lgkmcnt(0)
	v_readfirstlane_b32 s2, v5
	s_cbranch_vccz .LBB4_14
; %bb.13:                               ;   in Loop: Header=BB4_7 Depth=1
	s_delay_alu instid0(VALU_DEP_1)
	s_add_i32 s3, s2, s1
	s_mov_b32 s8, 0
.LBB4_14:                               ;   in Loop: Header=BB4_7 Depth=1
	s_delay_alu instid0(SALU_CYCLE_1)
	s_and_not1_b32 vcc_lo, exec_lo, s8
	s_cbranch_vccnz .LBB4_5
; %bb.15:                               ;   in Loop: Header=BB4_7 Depth=1
	s_cmp_ge_i32 s6, s44
	s_cselect_b32 s3, -1, 0
	s_delay_alu instid0(SALU_CYCLE_1) | instskip(NEXT) | instid1(SALU_CYCLE_1)
	s_or_b32 s3, s5, s3
	s_and_b32 vcc_lo, exec_lo, s3
	s_cbranch_vccnz .LBB4_4
; %bb.16:                               ;   in Loop: Header=BB4_7 Depth=1
	s_mov_b32 s8, 1
	s_movk_i32 s9, 0x200
	s_set_inst_prefetch_distance 0x1
	s_branch .LBB4_18
	.p2align	6
.LBB4_17:                               ;   in Loop: Header=BB4_18 Depth=2
	s_cmp_lt_i32 s8, s1
	s_cselect_b32 s3, -1, 0
	s_add_i32 s10, s6, s8
	s_delay_alu instid0(SALU_CYCLE_1)
	s_cmp_lt_i32 s10, s44
	s_cselect_b32 s10, -1, 0
	s_add_i32 s8, s8, 1
	s_and_b32 s3, s3, s10
	s_add_i32 s9, s9, 4
	s_and_not1_b32 vcc_lo, exec_lo, s3
	s_cbranch_vccnz .LBB4_4
.LBB4_18:                               ;   Parent Loop BB4_7 Depth=1
                                        ; =>  This Inner Loop Header: Depth=2
	v_mov_b32_e32 v4, s9
	ds_load_b32 v4, v4
	s_waitcnt lgkmcnt(0)
	v_cmp_eq_u32_e32 vcc_lo, 0xffffffd6, v4
	s_cbranch_vccnz .LBB4_17
; %bb.19:                               ;   in Loop: Header=BB4_18 Depth=2
	s_ashr_i32 s3, s2, 31
	s_delay_alu instid0(SALU_CYCLE_1)
	s_lshl_b64 s[10:11], s[2:3], 2
	s_add_i32 s2, s2, 1
	s_add_u32 s10, s36, s10
	s_addc_u32 s11, s37, s11
	global_store_b32 v1, v4, s[10:11]
	s_branch .LBB4_17
.LBB4_20:
	s_endpgm
	.section	.rodata,"a",@progbits
	.p2align	6, 0x0
	.amdhsa_kernel _Z30trim_ungrouped_pnts_indr_arrayiPiPfS_PcS1_S_S_S0_S_iiif
		.amdhsa_group_segment_fixed_size 776
		.amdhsa_private_segment_fixed_size 8
		.amdhsa_kernarg_size 352
		.amdhsa_user_sgpr_count 13
		.amdhsa_user_sgpr_dispatch_ptr 0
		.amdhsa_user_sgpr_queue_ptr 0
		.amdhsa_user_sgpr_kernarg_segment_ptr 1
		.amdhsa_user_sgpr_dispatch_id 0
		.amdhsa_user_sgpr_private_segment_size 0
		.amdhsa_wavefront_size32 1
		.amdhsa_uses_dynamic_stack 0
		.amdhsa_enable_private_segment 1
		.amdhsa_system_sgpr_workgroup_id_x 1
		.amdhsa_system_sgpr_workgroup_id_y 1
		.amdhsa_system_sgpr_workgroup_id_z 1
		.amdhsa_system_sgpr_workgroup_info 0
		.amdhsa_system_vgpr_workitem_id 0
		.amdhsa_next_free_vgpr 119
		.amdhsa_next_free_sgpr 50
		.amdhsa_reserve_vcc 1
		.amdhsa_float_round_mode_32 0
		.amdhsa_float_round_mode_16_64 0
		.amdhsa_float_denorm_mode_32 3
		.amdhsa_float_denorm_mode_16_64 3
		.amdhsa_dx10_clamp 1
		.amdhsa_ieee_mode 1
		.amdhsa_fp16_overflow 0
		.amdhsa_workgroup_processor_mode 1
		.amdhsa_memory_ordered 1
		.amdhsa_forward_progress 0
		.amdhsa_shared_vgpr_count 0
		.amdhsa_exception_fp_ieee_invalid_op 0
		.amdhsa_exception_fp_denorm_src 0
		.amdhsa_exception_fp_ieee_div_zero 0
		.amdhsa_exception_fp_ieee_overflow 0
		.amdhsa_exception_fp_ieee_underflow 0
		.amdhsa_exception_fp_ieee_inexact 0
		.amdhsa_exception_int_div_zero 0
	.end_amdhsa_kernel
	.text
.Lfunc_end4:
	.size	_Z30trim_ungrouped_pnts_indr_arrayiPiPfS_PcS1_S_S_S0_S_iiif, .Lfunc_end4-_Z30trim_ungrouped_pnts_indr_arrayiPiPfS_PcS1_S_S_S0_S_iiif
                                        ; -- End function
	.section	.AMDGPU.csdata,"",@progbits
; Kernel info:
; codeLenInByte = 860
; NumSgprs: 52
; NumVgprs: 119
; ScratchSize: 8
; MemoryBound: 0
; FloatMode: 240
; IeeeMode: 1
; LDSByteSize: 776 bytes/workgroup (compile time only)
; SGPRBlocks: 6
; VGPRBlocks: 14
; NumSGPRsForWavesPerEU: 52
; NumVGPRsForWavesPerEU: 119
; Occupancy: 12
; WaveLimiterHint : 1
; COMPUTE_PGM_RSRC2:SCRATCH_EN: 1
; COMPUTE_PGM_RSRC2:USER_SGPR: 13
; COMPUTE_PGM_RSRC2:TRAP_HANDLER: 0
; COMPUTE_PGM_RSRC2:TGID_X_EN: 1
; COMPUTE_PGM_RSRC2:TGID_Y_EN: 1
; COMPUTE_PGM_RSRC2:TGID_Z_EN: 1
; COMPUTE_PGM_RSRC2:TIDIG_COMP_CNT: 0
	.text
	.protected	_Z10QTC_devicePfPcS0_PiS1_S1_S_S1_iiifiii ; -- Begin function _Z10QTC_devicePfPcS0_PiS1_S1_S_S1_iiifiii
	.globl	_Z10QTC_devicePfPcS0_PiS1_S1_S_S1_iiifiii
	.p2align	8
	.type	_Z10QTC_devicePfPcS0_PiS1_S1_S_S1_iiifiii,@function
_Z10QTC_devicePfPcS0_PiS1_S1_S_S1_iiifiii: ; @_Z10QTC_devicePfPcS0_PiS1_S1_S_S1_iiifiii
; %bb.0:
	s_clause 0x1
	s_load_b256 s[56:63], s[0:1], 0x40
	s_load_b512 s[40:55], s[0:1], 0x0
	s_mov_b64 s[36:37], s[0:1]
	v_mov_b32_e32 v43, v0
	s_mov_b32 s33, s13
	s_mov_b32 s32, 0
	s_waitcnt lgkmcnt(0)
	s_mul_i32 s0, s13, s61
	s_delay_alu instid0(SALU_CYCLE_1) | instskip(NEXT) | instid1(SALU_CYCLE_1)
	s_add_i32 s61, s0, s60
	s_cmp_ge_i32 s61, s56
	s_cbranch_scc1 .LBB5_5
; %bb.1:
	s_mul_i32 s1, s33, s57
	s_mul_i32 s2, s33, s58
	s_ashr_i32 s3, s1, 31
	s_add_u32 s64, s42, s1
	s_addc_u32 s65, s43, s3
	s_ashr_i32 s3, s2, 31
	v_mov_b32_e32 v44, -1
	s_lshl_b64 s[2:3], s[2:3], 2
	v_mov_b32_e32 v46, 0
	s_add_u32 s52, s52, s2
	s_addc_u32 s53, s53, s3
	s_ashr_i32 s1, s60, 31
	s_ashr_i32 s2, s0, 31
	s_add_u32 s0, s60, s0
	s_addc_u32 s1, s1, s2
	s_mov_b32 s38, s15
	s_lshl_b64 s[0:1], s[0:1], 2
	s_mov_b32 s39, s14
	s_add_u32 s42, s50, s0
	s_addc_u32 s43, s51, s1
	s_ashr_i32 s63, s62, 31
	s_delay_alu instid0(SALU_CYCLE_1)
	s_lshl_b64 s[50:51], s[62:63], 2
	s_branch .LBB5_3
.LBB5_2:                                ;   in Loop: Header=BB5_3 Depth=1
	s_or_b32 exec_lo, exec_lo, s60
	s_add_i32 s61, s61, s62
	s_add_u32 s42, s42, s50
	s_addc_u32 s43, s43, s51
	s_cmp_lt_i32 s61, s56
	s_cbranch_scc0 .LBB5_6
.LBB5_3:                                ; =>This Inner Loop Header: Depth=1
	global_load_b32 v41, v46, s[42:43]
	s_mov_b32 s60, exec_lo
	s_waitcnt vmcnt(0)
	v_ashrrev_i32_e32 v42, 31, v41
	s_delay_alu instid0(VALU_DEP_1) | instskip(NEXT) | instid1(VALU_DEP_1)
	v_lshlrev_b64 v[0:1], 2, v[41:42]
	v_add_co_u32 v0, vcc_lo, s54, v0
	s_delay_alu instid0(VALU_DEP_2)
	v_add_co_ci_u32_e32 v1, vcc_lo, s55, v1, vcc_lo
	global_load_b32 v0, v[0:1], off
	s_waitcnt vmcnt(0)
	v_cmpx_gt_i32_e64 v0, v44
	s_cbranch_execz .LBB5_2
; %bb.4:                                ;   in Loop: Header=BB5_3 Depth=1
	v_dual_mov_b32 v31, v43 :: v_dual_mov_b32 v0, v41
	v_dual_mov_b32 v1, s64 :: v_dual_mov_b32 v2, s65
	;; [unrolled: 1-line block ×9, first 2 shown]
	s_add_u32 s8, s36, 0x60
	s_addc_u32 s9, s37, 0
	s_mov_b32 s12, s33
	s_mov_b32 s13, s39
	s_mov_b32 s14, s38
	s_getpc_b64 s[0:1]
	s_add_u32 s0, s0, _Z42generate_candidate_cluster_compact_storageiiPcPfS_PiS0_iiiS1_f@rel32@lo+4
	s_addc_u32 s1, s1, _Z42generate_candidate_cluster_compact_storageiiPcPfS_PiS0_iiiS1_f@rel32@hi+12
	s_delay_alu instid0(SALU_CYCLE_1)
	s_swappc_b64 s[30:31], s[0:1]
	v_cmp_gt_i32_e32 vcc_lo, v0, v44
	v_max_i32_e32 v44, v0, v44
	v_cndmask_b32_e32 v45, v45, v41, vcc_lo
	s_branch .LBB5_2
.LBB5_5:
	v_mov_b32_e32 v44, -1
.LBB5_6:
	s_mov_b32 s0, exec_lo
	v_cmpx_eq_u32_e32 0, v43
	s_cbranch_execz .LBB5_8
; %bb.7:
	s_lshl_b32 s0, s33, 1
	v_mov_b32_e32 v0, 0
	s_ashr_i32 s1, s0, 31
	s_delay_alu instid0(SALU_CYCLE_1) | instskip(NEXT) | instid1(SALU_CYCLE_1)
	s_lshl_b64 s[0:1], s[0:1], 2
	s_add_u32 s0, s48, s0
	s_addc_u32 s1, s49, s1
	global_store_b64 v0, v[44:45], s[0:1]
.LBB5_8:
	s_endpgm
	.section	.rodata,"a",@progbits
	.p2align	6, 0x0
	.amdhsa_kernel _Z10QTC_devicePfPcS0_PiS1_S1_S_S1_iiifiii
		.amdhsa_group_segment_fixed_size 512
		.amdhsa_private_segment_fixed_size 8
		.amdhsa_kernarg_size 352
		.amdhsa_user_sgpr_count 13
		.amdhsa_user_sgpr_dispatch_ptr 0
		.amdhsa_user_sgpr_queue_ptr 0
		.amdhsa_user_sgpr_kernarg_segment_ptr 1
		.amdhsa_user_sgpr_dispatch_id 0
		.amdhsa_user_sgpr_private_segment_size 0
		.amdhsa_wavefront_size32 1
		.amdhsa_uses_dynamic_stack 0
		.amdhsa_enable_private_segment 1
		.amdhsa_system_sgpr_workgroup_id_x 1
		.amdhsa_system_sgpr_workgroup_id_y 1
		.amdhsa_system_sgpr_workgroup_id_z 1
		.amdhsa_system_sgpr_workgroup_info 0
		.amdhsa_system_vgpr_workitem_id 0
		.amdhsa_next_free_vgpr 119
		.amdhsa_next_free_sgpr 66
		.amdhsa_reserve_vcc 1
		.amdhsa_float_round_mode_32 0
		.amdhsa_float_round_mode_16_64 0
		.amdhsa_float_denorm_mode_32 3
		.amdhsa_float_denorm_mode_16_64 3
		.amdhsa_dx10_clamp 1
		.amdhsa_ieee_mode 1
		.amdhsa_fp16_overflow 0
		.amdhsa_workgroup_processor_mode 1
		.amdhsa_memory_ordered 1
		.amdhsa_forward_progress 0
		.amdhsa_shared_vgpr_count 0
		.amdhsa_exception_fp_ieee_invalid_op 0
		.amdhsa_exception_fp_denorm_src 0
		.amdhsa_exception_fp_ieee_div_zero 0
		.amdhsa_exception_fp_ieee_overflow 0
		.amdhsa_exception_fp_ieee_underflow 0
		.amdhsa_exception_fp_ieee_inexact 0
		.amdhsa_exception_int_div_zero 0
	.end_amdhsa_kernel
	.text
.Lfunc_end5:
	.size	_Z10QTC_devicePfPcS0_PiS1_S1_S_S1_iiifiii, .Lfunc_end5-_Z10QTC_devicePfPcS0_PiS1_S1_S_S1_iiifiii
                                        ; -- End function
	.section	.AMDGPU.csdata,"",@progbits
; Kernel info:
; codeLenInByte = 448
; NumSgprs: 68
; NumVgprs: 119
; ScratchSize: 8
; MemoryBound: 0
; FloatMode: 240
; IeeeMode: 1
; LDSByteSize: 512 bytes/workgroup (compile time only)
; SGPRBlocks: 8
; VGPRBlocks: 14
; NumSGPRsForWavesPerEU: 68
; NumVGPRsForWavesPerEU: 119
; Occupancy: 12
; WaveLimiterHint : 1
; COMPUTE_PGM_RSRC2:SCRATCH_EN: 1
; COMPUTE_PGM_RSRC2:USER_SGPR: 13
; COMPUTE_PGM_RSRC2:TRAP_HANDLER: 0
; COMPUTE_PGM_RSRC2:TGID_X_EN: 1
; COMPUTE_PGM_RSRC2:TGID_Y_EN: 1
; COMPUTE_PGM_RSRC2:TGID_Z_EN: 1
; COMPUTE_PGM_RSRC2:TIDIG_COMP_CNT: 0
	.text
	.p2alignl 7, 3214868480
	.fill 96, 4, 3214868480
	.type	__hip_cuid_20bfecb0e749952,@object ; @__hip_cuid_20bfecb0e749952
	.section	.bss,"aw",@nobits
	.globl	__hip_cuid_20bfecb0e749952
__hip_cuid_20bfecb0e749952:
	.byte	0                               ; 0x0
	.size	__hip_cuid_20bfecb0e749952, 1

	.ident	"AMD clang version 19.0.0git (https://github.com/RadeonOpenCompute/llvm-project roc-6.4.0 25133 c7fe45cf4b819c5991fe208aaa96edf142730f1d)"
	.section	".note.GNU-stack","",@progbits
	.addrsig
	.addrsig_sym __hip_cuid_20bfecb0e749952
	.amdgpu_metadata
---
amdhsa.kernels:
  - .args:
      - .address_space:  global
        .offset:         0
        .size:           8
        .value_kind:     global_buffer
      - .offset:         8
        .size:           4
        .value_kind:     by_value
    .group_segment_fixed_size: 0
    .kernarg_segment_align: 8
    .kernarg_segment_size: 12
    .language:       OpenCL C
    .language_version:
      - 2
      - 0
    .max_flat_workgroup_size: 1024
    .name:           _Z18reduce_card_devicePii
    .private_segment_fixed_size: 0
    .sgpr_count:     10
    .sgpr_spill_count: 0
    .symbol:         _Z18reduce_card_devicePii.kd
    .uniform_work_group_size: 1
    .uses_dynamic_stack: false
    .vgpr_count:     3
    .vgpr_spill_count: 0
    .wavefront_size: 32
    .workgroup_processor_mode: 1
  - .args:
      - .address_space:  global
        .offset:         0
        .size:           8
        .value_kind:     global_buffer
      - .address_space:  global
        .offset:         8
        .size:           8
        .value_kind:     global_buffer
      - .offset:         16
        .size:           4
        .value_kind:     by_value
      - .offset:         20
        .size:           4
        .value_kind:     by_value
      - .offset:         24
        .size:           4
        .value_kind:     hidden_block_count_x
      - .offset:         28
        .size:           4
        .value_kind:     hidden_block_count_y
      - .offset:         32
        .size:           4
        .value_kind:     hidden_block_count_z
      - .offset:         36
        .size:           2
        .value_kind:     hidden_group_size_x
      - .offset:         38
        .size:           2
        .value_kind:     hidden_group_size_y
      - .offset:         40
        .size:           2
        .value_kind:     hidden_group_size_z
      - .offset:         42
        .size:           2
        .value_kind:     hidden_remainder_x
      - .offset:         44
        .size:           2
        .value_kind:     hidden_remainder_y
      - .offset:         46
        .size:           2
        .value_kind:     hidden_remainder_z
      - .offset:         64
        .size:           8
        .value_kind:     hidden_global_offset_x
      - .offset:         72
        .size:           8
        .value_kind:     hidden_global_offset_y
      - .offset:         80
        .size:           8
        .value_kind:     hidden_global_offset_z
      - .offset:         88
        .size:           2
        .value_kind:     hidden_grid_dims
    .group_segment_fixed_size: 0
    .kernarg_segment_align: 8
    .kernarg_segment_size: 280
    .language:       OpenCL C
    .language_version:
      - 2
      - 0
    .max_flat_workgroup_size: 1024
    .name:           _Z15compute_degreesPiS_ii
    .private_segment_fixed_size: 0
    .sgpr_count:     18
    .sgpr_spill_count: 0
    .symbol:         _Z15compute_degreesPiS_ii.kd
    .uniform_work_group_size: 1
    .uses_dynamic_stack: false
    .vgpr_count:     8
    .vgpr_spill_count: 0
    .wavefront_size: 32
    .workgroup_processor_mode: 1
  - .args:
      - .address_space:  global
        .offset:         0
        .size:           8
        .value_kind:     global_buffer
      - .address_space:  global
        .offset:         8
        .size:           8
        .value_kind:     global_buffer
      - .offset:         16
        .size:           4
        .value_kind:     by_value
      - .offset:         24
        .size:           4
        .value_kind:     hidden_block_count_x
      - .offset:         28
        .size:           4
        .value_kind:     hidden_block_count_y
      - .offset:         32
        .size:           4
        .value_kind:     hidden_block_count_z
      - .offset:         36
        .size:           2
        .value_kind:     hidden_group_size_x
      - .offset:         38
        .size:           2
        .value_kind:     hidden_group_size_y
      - .offset:         40
        .size:           2
        .value_kind:     hidden_group_size_z
      - .offset:         42
        .size:           2
        .value_kind:     hidden_remainder_x
      - .offset:         44
        .size:           2
        .value_kind:     hidden_remainder_y
      - .offset:         46
        .size:           2
        .value_kind:     hidden_remainder_z
      - .offset:         64
        .size:           8
        .value_kind:     hidden_global_offset_x
      - .offset:         72
        .size:           8
        .value_kind:     hidden_global_offset_y
      - .offset:         80
        .size:           8
        .value_kind:     hidden_global_offset_z
      - .offset:         88
        .size:           2
        .value_kind:     hidden_grid_dims
    .group_segment_fixed_size: 0
    .kernarg_segment_align: 8
    .kernarg_segment_size: 280
    .language:       OpenCL C
    .language_version:
      - 2
      - 0
    .max_flat_workgroup_size: 1024
    .name:           _Z26update_clustered_pnts_maskPcS_i
    .private_segment_fixed_size: 0
    .sgpr_count:     12
    .sgpr_spill_count: 0
    .symbol:         _Z26update_clustered_pnts_maskPcS_i.kd
    .uniform_work_group_size: 1
    .uses_dynamic_stack: false
    .vgpr_count:     10
    .vgpr_spill_count: 0
    .wavefront_size: 32
    .workgroup_processor_mode: 1
  - .args:
      - .offset:         0
        .size:           4
        .value_kind:     by_value
      - .address_space:  global
        .offset:         8
        .size:           8
        .value_kind:     global_buffer
      - .address_space:  global
        .offset:         16
        .size:           8
        .value_kind:     global_buffer
      - .address_space:  global
        .offset:         24
        .size:           8
        .value_kind:     global_buffer
      - .address_space:  global
        .offset:         32
        .size:           8
        .value_kind:     global_buffer
      - .address_space:  global
        .offset:         40
        .size:           8
        .value_kind:     global_buffer
      - .address_space:  global
        .offset:         48
        .size:           8
        .value_kind:     global_buffer
      - .address_space:  global
        .offset:         56
        .size:           8
        .value_kind:     global_buffer
      - .address_space:  global
        .offset:         64
        .size:           8
        .value_kind:     global_buffer
      - .address_space:  global
        .offset:         72
        .size:           8
        .value_kind:     global_buffer
      - .offset:         80
        .size:           4
        .value_kind:     by_value
      - .offset:         84
        .size:           4
        .value_kind:     by_value
      - .offset:         88
        .size:           4
        .value_kind:     by_value
      - .offset:         92
        .size:           4
        .value_kind:     by_value
      - .offset:         96
        .size:           4
        .value_kind:     hidden_block_count_x
      - .offset:         100
        .size:           4
        .value_kind:     hidden_block_count_y
      - .offset:         104
        .size:           4
        .value_kind:     hidden_block_count_z
      - .offset:         108
        .size:           2
        .value_kind:     hidden_group_size_x
      - .offset:         110
        .size:           2
        .value_kind:     hidden_group_size_y
      - .offset:         112
        .size:           2
        .value_kind:     hidden_group_size_z
      - .offset:         114
        .size:           2
        .value_kind:     hidden_remainder_x
      - .offset:         116
        .size:           2
        .value_kind:     hidden_remainder_y
      - .offset:         118
        .size:           2
        .value_kind:     hidden_remainder_z
      - .offset:         136
        .size:           8
        .value_kind:     hidden_global_offset_x
      - .offset:         144
        .size:           8
        .value_kind:     hidden_global_offset_y
      - .offset:         152
        .size:           8
        .value_kind:     hidden_global_offset_z
      - .offset:         160
        .size:           2
        .value_kind:     hidden_grid_dims
    .group_segment_fixed_size: 776
    .kernarg_segment_align: 8
    .kernarg_segment_size: 352
    .language:       OpenCL C
    .language_version:
      - 2
      - 0
    .max_flat_workgroup_size: 1024
    .name:           _Z30trim_ungrouped_pnts_indr_arrayiPiPfS_PcS1_S_S_S0_S_iiif
    .private_segment_fixed_size: 8
    .sgpr_count:     52
    .sgpr_spill_count: 0
    .symbol:         _Z30trim_ungrouped_pnts_indr_arrayiPiPfS_PcS1_S_S_S0_S_iiif.kd
    .uniform_work_group_size: 1
    .uses_dynamic_stack: false
    .vgpr_count:     119
    .vgpr_spill_count: 0
    .wavefront_size: 32
    .workgroup_processor_mode: 1
  - .args:
      - .address_space:  global
        .offset:         0
        .size:           8
        .value_kind:     global_buffer
      - .address_space:  global
        .offset:         8
        .size:           8
        .value_kind:     global_buffer
      - .address_space:  global
        .offset:         16
        .size:           8
        .value_kind:     global_buffer
      - .address_space:  global
        .offset:         24
        .size:           8
        .value_kind:     global_buffer
      - .address_space:  global
        .offset:         32
        .size:           8
        .value_kind:     global_buffer
      - .address_space:  global
        .offset:         40
        .size:           8
        .value_kind:     global_buffer
      - .address_space:  global
        .offset:         48
        .size:           8
        .value_kind:     global_buffer
      - .address_space:  global
        .offset:         56
        .size:           8
        .value_kind:     global_buffer
      - .offset:         64
        .size:           4
        .value_kind:     by_value
      - .offset:         68
        .size:           4
        .value_kind:     by_value
      - .offset:         72
        .size:           4
        .value_kind:     by_value
      - .offset:         76
        .size:           4
        .value_kind:     by_value
      - .offset:         80
        .size:           4
        .value_kind:     by_value
      - .offset:         84
        .size:           4
        .value_kind:     by_value
      - .offset:         88
        .size:           4
        .value_kind:     by_value
      - .offset:         96
        .size:           4
        .value_kind:     hidden_block_count_x
      - .offset:         100
        .size:           4
        .value_kind:     hidden_block_count_y
      - .offset:         104
        .size:           4
        .value_kind:     hidden_block_count_z
      - .offset:         108
        .size:           2
        .value_kind:     hidden_group_size_x
      - .offset:         110
        .size:           2
        .value_kind:     hidden_group_size_y
      - .offset:         112
        .size:           2
        .value_kind:     hidden_group_size_z
      - .offset:         114
        .size:           2
        .value_kind:     hidden_remainder_x
      - .offset:         116
        .size:           2
        .value_kind:     hidden_remainder_y
      - .offset:         118
        .size:           2
        .value_kind:     hidden_remainder_z
      - .offset:         136
        .size:           8
        .value_kind:     hidden_global_offset_x
      - .offset:         144
        .size:           8
        .value_kind:     hidden_global_offset_y
      - .offset:         152
        .size:           8
        .value_kind:     hidden_global_offset_z
      - .offset:         160
        .size:           2
        .value_kind:     hidden_grid_dims
    .group_segment_fixed_size: 512
    .kernarg_segment_align: 8
    .kernarg_segment_size: 352
    .language:       OpenCL C
    .language_version:
      - 2
      - 0
    .max_flat_workgroup_size: 1024
    .name:           _Z10QTC_devicePfPcS0_PiS1_S1_S_S1_iiifiii
    .private_segment_fixed_size: 8
    .sgpr_count:     68
    .sgpr_spill_count: 0
    .symbol:         _Z10QTC_devicePfPcS0_PiS1_S1_S_S1_iiifiii.kd
    .uniform_work_group_size: 1
    .uses_dynamic_stack: false
    .vgpr_count:     119
    .vgpr_spill_count: 0
    .wavefront_size: 32
    .workgroup_processor_mode: 1
amdhsa.target:   amdgcn-amd-amdhsa--gfx1100
amdhsa.version:
  - 1
  - 2
...

	.end_amdgpu_metadata
